;; amdgpu-corpus repo=ROCm/rocFFT kind=compiled arch=gfx950 opt=O3
	.text
	.amdgcn_target "amdgcn-amd-amdhsa--gfx950"
	.amdhsa_code_object_version 6
	.protected	bluestein_single_fwd_len1716_dim1_dp_op_CI_CI ; -- Begin function bluestein_single_fwd_len1716_dim1_dp_op_CI_CI
	.globl	bluestein_single_fwd_len1716_dim1_dp_op_CI_CI
	.p2align	8
	.type	bluestein_single_fwd_len1716_dim1_dp_op_CI_CI,@function
bluestein_single_fwd_len1716_dim1_dp_op_CI_CI: ; @bluestein_single_fwd_len1716_dim1_dp_op_CI_CI
; %bb.0:
	s_load_dwordx4 s[12:15], s[0:1], 0x28
	v_mul_u32_u24_e32 v1, 0x1a5, v0
	v_mov_b32_e32 v171, 0
	v_add_u32_sdwa v178, s2, v1 dst_sel:DWORD dst_unused:UNUSED_PAD src0_sel:DWORD src1_sel:WORD_1
	v_mov_b32_e32 v179, v171
	s_waitcnt lgkmcnt(0)
	v_cmp_gt_u64_e32 vcc, s[12:13], v[178:179]
	s_and_saveexec_b64 s[2:3], vcc
	s_cbranch_execz .LBB0_31
; %bb.1:
	s_load_dwordx2 s[16:17], s[0:1], 0x0
	s_load_dwordx2 s[12:13], s[0:1], 0x38
	s_movk_i32 s2, 0x9c
	v_mul_lo_u16_sdwa v1, v1, s2 dst_sel:DWORD dst_unused:UNUSED_PAD src0_sel:WORD_1 src1_sel:DWORD
	v_sub_u16_e32 v170, v0, v1
	s_movk_i32 s2, 0x84
	v_cmp_gt_u16_e64 s[6:7], s2, v170
	v_lshlrev_b32_e32 v184, 4, v170
	s_and_saveexec_b64 s[2:3], s[6:7]
	s_cbranch_execz .LBB0_3
; %bb.2:
	s_load_dwordx2 s[4:5], s[0:1], 0x18
	v_mov_b32_e32 v0, s14
	v_mov_b32_e32 v1, s15
	;; [unrolled: 1-line block ×4, first 2 shown]
	s_waitcnt lgkmcnt(0)
	s_load_dwordx4 s[8:11], s[4:5], 0x0
	v_lshl_add_u64 v[36:37], s[16:17], 0, v[184:185]
	s_waitcnt lgkmcnt(0)
	v_mad_u64_u32 v[2:3], s[4:5], s10, v178, 0
	v_mad_u64_u32 v[4:5], s[4:5], s8, v170, 0
	v_mov_b32_e32 v6, v3
	v_mov_b32_e32 v8, v5
	v_mad_u64_u32 v[6:7], s[4:5], s11, v178, v[6:7]
	v_mov_b32_e32 v3, v6
	v_mad_u64_u32 v[6:7], s[4:5], s9, v170, v[8:9]
	v_mov_b32_e32 v5, v6
	v_lshl_add_u64 v[0:1], v[2:3], 4, v[0:1]
	v_lshl_add_u64 v[8:9], v[4:5], 4, v[0:1]
	v_mad_u64_u32 v[20:21], s[4:5], s8, v102, v[8:9]
	s_mul_i32 s4, s9, 0x840
	s_nop 0
	v_add_u32_e32 v21, s4, v21
	global_load_dwordx4 v[0:3], v[8:9], off
	global_load_dwordx4 v[4:7], v184, s[16:17]
	v_mad_u64_u32 v[22:23], s[10:11], s8, v102, v[20:21]
	global_load_dwordx4 v[8:11], v184, s[16:17] offset:2112
	v_add_u32_e32 v23, s4, v23
	s_movk_i32 s5, 0x1000
	v_mad_u64_u32 v[38:39], s[10:11], s8, v102, v[22:23]
	global_load_dwordx4 v[16:19], v[20:21], off
	global_load_dwordx4 v[12:15], v[22:23], off
	v_add_co_u32_e32 v28, vcc, s5, v36
	v_add_u32_e32 v39, s4, v39
	s_nop 0
	v_addc_co_u32_e32 v29, vcc, 0, v37, vcc
	v_mad_u64_u32 v[40:41], s[10:11], s8, v102, v[38:39]
	global_load_dwordx4 v[20:23], v[28:29], off offset:128
	global_load_dwordx4 v[24:27], v[28:29], off offset:2240
	v_add_u32_e32 v41, s4, v41
	v_mad_u64_u32 v[52:53], s[10:11], s8, v102, v[40:41]
	global_load_dwordx4 v[32:35], v[38:39], off
	global_load_dwordx4 v[28:31], v[40:41], off
	s_movk_i32 s5, 0x2000
	v_add_u32_e32 v53, s4, v53
	v_add_co_u32_e32 v50, vcc, s5, v36
	v_mad_u64_u32 v[54:55], s[10:11], s8, v102, v[52:53]
	s_nop 0
	v_addc_co_u32_e32 v51, vcc, 0, v37, vcc
	global_load_dwordx4 v[38:41], v[52:53], off
	global_load_dwordx4 v[42:45], v[50:51], off offset:256
	global_load_dwordx4 v[46:49], v[50:51], off offset:2368
	v_add_u32_e32 v55, s4, v55
	v_mad_u64_u32 v[68:69], s[10:11], s8, v102, v[54:55]
	s_movk_i32 s5, 0x3000
	v_add_u32_e32 v69, s4, v69
	global_load_dwordx4 v[50:53], v[54:55], off
	v_add_co_u32_e32 v66, vcc, s5, v36
	v_mad_u64_u32 v[70:71], s[10:11], s8, v102, v[68:69]
	s_nop 0
	v_addc_co_u32_e32 v67, vcc, 0, v37, vcc
	global_load_dwordx4 v[54:57], v[68:69], off
	global_load_dwordx4 v[58:61], v[66:67], off offset:384
	global_load_dwordx4 v[62:65], v[66:67], off offset:2496
	v_add_u32_e32 v71, s4, v71
	v_mad_u64_u32 v[84:85], s[10:11], s8, v102, v[70:71]
	s_movk_i32 s5, 0x4000
	v_add_u32_e32 v85, s4, v85
	global_load_dwordx4 v[66:69], v[70:71], off
	v_add_co_u32_e32 v82, vcc, s5, v36
	v_mad_u64_u32 v[86:87], s[10:11], s8, v102, v[84:85]
	s_nop 0
	v_addc_co_u32_e32 v83, vcc, 0, v37, vcc
	global_load_dwordx4 v[70:73], v[84:85], off
	global_load_dwordx4 v[74:77], v[82:83], off offset:512
	global_load_dwordx4 v[78:81], v[82:83], off offset:2624
	v_add_u32_e32 v87, s4, v87
	s_movk_i32 s5, 0x5000
	v_add_co_u32_e32 v98, vcc, s5, v36
	v_mad_u64_u32 v[100:101], s[10:11], s8, v102, v[86:87]
	s_nop 0
	v_addc_co_u32_e32 v99, vcc, 0, v37, vcc
	v_add_u32_e32 v101, s4, v101
	global_load_dwordx4 v[82:85], v[86:87], off
	s_nop 0
	global_load_dwordx4 v[86:89], v[100:101], off
	global_load_dwordx4 v[90:93], v[98:99], off offset:640
	global_load_dwordx4 v[94:97], v[98:99], off offset:2752
	v_mad_u64_u32 v[98:99], s[8:9], s8, v102, v[100:101]
	v_add_u32_e32 v99, s4, v99
	s_movk_i32 s4, 0x6000
	v_add_co_u32_e32 v36, vcc, s4, v36
	global_load_dwordx4 v[98:101], v[98:99], off
	s_nop 0
	v_addc_co_u32_e32 v37, vcc, 0, v37, vcc
	global_load_dwordx4 v[102:105], v[36:37], off offset:768
	s_waitcnt vmcnt(24)
	v_mul_f64 v[106:107], v[2:3], v[6:7]
	v_fmac_f64_e32 v[106:107], v[0:1], v[4:5]
	v_mul_f64 v[0:1], v[0:1], v[6:7]
	v_fma_f64 v[108:109], v[2:3], v[4:5], -v[0:1]
	ds_write_b128 v184, v[106:109]
	s_waitcnt vmcnt(22)
	v_mul_f64 v[0:1], v[18:19], v[10:11]
	v_mul_f64 v[2:3], v[16:17], v[10:11]
	v_fmac_f64_e32 v[0:1], v[16:17], v[8:9]
	v_fma_f64 v[2:3], v[18:19], v[8:9], -v[2:3]
	ds_write_b128 v184, v[0:3] offset:2112
	s_waitcnt vmcnt(20)
	v_mul_f64 v[0:1], v[14:15], v[22:23]
	v_mul_f64 v[2:3], v[12:13], v[22:23]
	v_fmac_f64_e32 v[0:1], v[12:13], v[20:21]
	v_fma_f64 v[2:3], v[14:15], v[20:21], -v[2:3]
	ds_write_b128 v184, v[0:3] offset:4224
	;; [unrolled: 6-line block ×12, first 2 shown]
.LBB0_3:
	s_or_b64 exec, exec, s[2:3]
	s_waitcnt lgkmcnt(0)
	s_barrier
	s_waitcnt lgkmcnt(0)
                                        ; implicit-def: $vgpr4_vgpr5
                                        ; implicit-def: $vgpr8_vgpr9
                                        ; implicit-def: $vgpr12_vgpr13
                                        ; implicit-def: $vgpr16_vgpr17
                                        ; implicit-def: $vgpr20_vgpr21
                                        ; implicit-def: $vgpr28_vgpr29
                                        ; implicit-def: $vgpr32_vgpr33
                                        ; implicit-def: $vgpr36_vgpr37
                                        ; implicit-def: $vgpr44_vgpr45
                                        ; implicit-def: $vgpr48_vgpr49
                                        ; implicit-def: $vgpr52_vgpr53
                                        ; implicit-def: $vgpr56_vgpr57
                                        ; implicit-def: $vgpr60_vgpr61
	s_and_saveexec_b64 s[2:3], s[6:7]
	s_cbranch_execz .LBB0_5
; %bb.4:
	ds_read_b128 v[4:7], v184
	ds_read_b128 v[8:11], v184 offset:2112
	ds_read_b128 v[12:15], v184 offset:4224
	;; [unrolled: 1-line block ×12, first 2 shown]
.LBB0_5:
	s_or_b64 exec, exec, s[2:3]
	s_mov_b32 s26, 0x4267c47c
	s_waitcnt lgkmcnt(0)
	v_add_f64 v[80:81], v[10:11], -v[62:63]
	s_mov_b32 s2, 0xe00740e9
	s_mov_b32 s27, 0xbfddbe06
	;; [unrolled: 1-line block ×3, first 2 shown]
	v_add_f64 v[92:93], v[8:9], v[60:61]
	v_add_f64 v[100:101], v[8:9], -v[60:61]
	s_mov_b32 s3, 0x3fec55a7
	v_mul_f64 v[84:85], v[80:81], s[26:27]
	s_mov_b32 s8, 0x1ea71119
	s_mov_b32 s31, 0xbfea55e2
	v_add_f64 v[122:123], v[14:15], -v[58:59]
	v_add_f64 v[82:83], v[10:11], v[62:63]
	v_mul_f64 v[86:87], v[100:101], s[26:27]
	v_fma_f64 v[0:1], s[2:3], v[92:93], v[84:85]
	s_mov_b32 s9, 0x3fe22d96
	s_mov_b32 s22, 0x66966769
	v_add_f64 v[104:105], v[12:13], v[56:57]
	v_add_f64 v[110:111], v[12:13], -v[56:57]
	v_mul_f64 v[88:89], v[122:123], s[30:31]
	v_add_f64 v[0:1], v[4:5], v[0:1]
	v_fma_f64 v[2:3], v[82:83], s[2:3], -v[86:87]
	s_mov_b32 s10, 0xebaa3ed8
	s_mov_b32 s23, 0xbfefc445
	v_add_f64 v[134:135], v[14:15], v[58:59]
	v_mul_f64 v[90:91], v[110:111], s[30:31]
	v_fma_f64 v[24:25], s[8:9], v[104:105], v[88:89]
	v_add_f64 v[156:157], v[18:19], -v[54:55]
	v_add_f64 v[2:3], v[6:7], v[2:3]
	s_mov_b32 s11, 0x3fbedb7d
	v_add_f64 v[0:1], v[24:25], v[0:1]
	v_fma_f64 v[24:25], v[134:135], s[8:9], -v[90:91]
	s_mov_b32 s24, 0x2ef20147
	v_add_f64 v[112:113], v[16:17], v[52:53]
	v_add_f64 v[126:127], v[16:17], -v[52:53]
	v_mul_f64 v[94:95], v[156:157], s[22:23]
	v_add_f64 v[2:3], v[24:25], v[2:3]
	s_mov_b32 s14, 0xb2365da1
	s_mov_b32 s25, 0xbfedeba7
	v_add_f64 v[130:131], v[18:19], v[54:55]
	v_mul_f64 v[96:97], v[126:127], s[22:23]
	v_fma_f64 v[24:25], s[10:11], v[112:113], v[94:95]
	v_add_f64 v[172:173], v[22:23], -v[50:51]
	s_mov_b32 s15, 0xbfd6b1d8
	v_add_f64 v[0:1], v[24:25], v[0:1]
	v_fma_f64 v[24:25], v[130:131], s[10:11], -v[96:97]
	v_add_f64 v[118:119], v[20:21], v[48:49]
	v_add_f64 v[150:151], v[20:21], -v[48:49]
	v_mul_f64 v[98:99], v[172:173], s[24:25]
	s_mov_b32 s34, 0x24c2f84
	v_add_f64 v[2:3], v[24:25], v[2:3]
	v_add_f64 v[136:137], v[22:23], v[50:51]
	v_mul_f64 v[102:103], v[150:151], s[24:25]
	v_fma_f64 v[24:25], s[14:15], v[118:119], v[98:99]
	s_mov_b32 s28, 0xd0032e0c
	s_mov_b32 s35, 0x3fe5384d
	v_add_f64 v[206:207], v[30:31], -v[46:47]
	s_mov_b32 s39, 0xbfe5384d
	s_mov_b32 s38, s34
	;; [unrolled: 1-line block ×3, first 2 shown]
	v_add_f64 v[0:1], v[24:25], v[0:1]
	v_fma_f64 v[24:25], v[136:137], s[14:15], -v[102:103]
	s_mov_b32 s29, 0xbfe7f3cc
	v_add_f64 v[146:147], v[28:29], v[44:45]
	v_add_f64 v[176:177], v[28:29], -v[44:45]
	v_mul_f64 v[106:107], v[206:207], s[38:39]
	s_mov_b32 s20, 0x93053d00
	s_mov_b32 s37, 0xbfcea1e5
	v_add_f64 v[2:3], v[24:25], v[2:3]
	v_add_f64 v[148:149], v[30:31], v[46:47]
	v_mul_f64 v[108:109], v[176:177], s[38:39]
	v_fma_f64 v[24:25], s[28:29], v[146:147], v[106:107]
	v_add_f64 v[220:221], v[34:35], -v[38:39]
	s_mov_b32 s21, 0xbfef11f4
	v_add_f64 v[0:1], v[24:25], v[0:1]
	v_fma_f64 v[24:25], v[148:149], s[28:29], -v[108:109]
	v_add_f64 v[158:159], v[32:33], v[36:37]
	v_mul_f64 v[114:115], v[220:221], s[36:37]
	v_add_f64 v[212:213], v[32:33], -v[36:37]
	v_add_f64 v[2:3], v[24:25], v[2:3]
	v_fma_f64 v[24:25], s[20:21], v[158:159], v[114:115]
	v_add_f64 v[162:163], v[34:35], v[38:39]
	v_mul_f64 v[116:117], v[212:213], s[36:37]
	v_add_f64 v[248:249], v[24:25], v[0:1]
	v_fma_f64 v[0:1], v[162:163], s[20:21], -v[116:117]
	v_mul_f64 v[120:121], v[80:81], s[30:31]
	v_add_f64 v[250:251], v[0:1], v[2:3]
	v_fma_f64 v[0:1], s[8:9], v[92:93], v[120:121]
	v_mul_f64 v[124:125], v[122:123], s[24:25]
	v_add_f64 v[0:1], v[4:5], v[0:1]
	v_fma_f64 v[2:3], s[14:15], v[104:105], v[124:125]
	v_mul_f64 v[132:133], v[100:101], s[30:31]
	v_add_f64 v[0:1], v[2:3], v[0:1]
	v_fma_f64 v[2:3], v[82:83], s[8:9], -v[132:133]
	v_mul_f64 v[140:141], v[110:111], s[24:25]
	v_add_f64 v[2:3], v[6:7], v[2:3]
	v_fma_f64 v[24:25], v[134:135], s[14:15], -v[140:141]
	v_mul_f64 v[128:129], v[156:157], s[36:37]
	v_add_f64 v[2:3], v[24:25], v[2:3]
	v_fma_f64 v[24:25], s[20:21], v[112:113], v[128:129]
	v_mul_f64 v[144:145], v[126:127], s[36:37]
	v_add_f64 v[0:1], v[24:25], v[0:1]
	v_fma_f64 v[24:25], v[130:131], s[20:21], -v[144:145]
	v_mul_f64 v[138:139], v[172:173], s[34:35]
	v_add_f64 v[2:3], v[24:25], v[2:3]
	v_fma_f64 v[24:25], s[28:29], v[118:119], v[138:139]
	v_mul_f64 v[152:153], v[150:151], s[34:35]
	s_mov_b32 s43, 0x3fefc445
	s_mov_b32 s42, s22
	v_add_f64 v[0:1], v[24:25], v[0:1]
	v_fma_f64 v[24:25], v[136:137], s[28:29], -v[152:153]
	v_mul_f64 v[142:143], v[206:207], s[42:43]
	v_add_f64 v[2:3], v[24:25], v[2:3]
	v_fma_f64 v[24:25], s[10:11], v[146:147], v[142:143]
	v_mul_f64 v[160:161], v[176:177], s[42:43]
	s_mov_b32 s41, 0x3fddbe06
	s_mov_b32 s40, s26
	v_add_f64 v[0:1], v[24:25], v[0:1]
	v_fma_f64 v[24:25], v[148:149], s[10:11], -v[160:161]
	v_mul_f64 v[154:155], v[220:221], s[40:41]
	v_add_f64 v[2:3], v[24:25], v[2:3]
	v_fma_f64 v[24:25], s[2:3], v[158:159], v[154:155]
	v_mul_f64 v[164:165], v[212:213], s[40:41]
	v_add_f64 v[40:41], v[24:25], v[0:1]
	v_fma_f64 v[0:1], v[162:163], s[2:3], -v[164:165]
	v_mul_f64 v[168:169], v[80:81], s[22:23]
	v_add_f64 v[42:43], v[0:1], v[2:3]
	v_fma_f64 v[0:1], s[10:11], v[92:93], v[168:169]
	v_mul_f64 v[174:175], v[122:123], s[36:37]
	v_add_f64 v[0:1], v[4:5], v[0:1]
	v_fma_f64 v[2:3], s[20:21], v[104:105], v[174:175]
	v_mul_f64 v[190:191], v[100:101], s[22:23]
	v_add_f64 v[0:1], v[2:3], v[0:1]
	v_fma_f64 v[2:3], v[82:83], s[10:11], -v[190:191]
	v_mul_f64 v[194:195], v[110:111], s[36:37]
	s_mov_b32 s45, 0x3fedeba7
	s_mov_b32 s44, s24
	v_add_f64 v[2:3], v[6:7], v[2:3]
	v_fma_f64 v[24:25], v[134:135], s[20:21], -v[194:195]
	v_mul_f64 v[180:181], v[156:157], s[44:45]
	v_add_f64 v[2:3], v[24:25], v[2:3]
	v_fma_f64 v[24:25], s[14:15], v[112:113], v[180:181]
	v_mul_f64 v[188:189], v[126:127], s[44:45]
	v_add_f64 v[0:1], v[24:25], v[0:1]
	v_fma_f64 v[24:25], v[130:131], s[14:15], -v[188:189]
	v_mul_f64 v[192:193], v[172:173], s[40:41]
	v_add_f64 v[2:3], v[24:25], v[2:3]
	v_fma_f64 v[24:25], s[2:3], v[118:119], v[192:193]
	v_mul_f64 v[204:205], v[150:151], s[40:41]
	;; [unrolled: 6-line block ×3, first 2 shown]
	s_load_dwordx2 s[4:5], s[0:1], 0x20
	s_nop 0
	s_load_dwordx2 s[0:1], s[0:1], 0x8
	v_add_f64 v[0:1], v[24:25], v[0:1]
	v_fma_f64 v[24:25], v[148:149], s[8:9], -v[210:211]
	v_mul_f64 v[186:187], v[220:221], s[38:39]
	v_add_f64 v[2:3], v[24:25], v[2:3]
	v_fma_f64 v[24:25], s[28:29], v[158:159], v[186:187]
	v_mul_f64 v[216:217], v[212:213], s[38:39]
	v_add_f64 v[24:25], v[24:25], v[0:1]
	v_fma_f64 v[0:1], v[162:163], s[28:29], -v[216:217]
	v_add_f64 v[26:27], v[0:1], v[2:3]
	v_mul_lo_u16_e32 v185, 13, v170
	s_waitcnt lgkmcnt(0)
	s_barrier
	s_and_saveexec_b64 s[18:19], s[6:7]
	s_cbranch_execz .LBB0_7
; %bb.6:
	v_mul_f64 v[222:223], v[82:83], s[20:21]
	s_mov_b32 s47, 0x3fcea1e5
	s_mov_b32 s46, s36
	v_mul_f64 v[76:77], v[134:135], s[2:3]
	v_fma_f64 v[224:225], s[46:47], v[100:101], v[222:223]
	v_mul_f64 v[72:73], v[130:131], s[28:29]
	v_fma_f64 v[78:79], s[26:27], v[110:111], v[76:77]
	v_add_f64 v[224:225], v[6:7], v[224:225]
	v_mul_f64 v[236:237], v[80:81], s[36:37]
	v_mul_f64 v[70:71], v[136:137], s[8:9]
	v_fma_f64 v[74:75], s[34:35], v[126:127], v[72:73]
	v_add_f64 v[78:79], v[78:79], v[224:225]
	v_mul_f64 v[232:233], v[122:123], s[40:41]
	v_fma_f64 v[238:239], s[20:21], v[92:93], v[236:237]
	v_mul_f64 v[68:69], v[148:149], s[14:15]
	v_fma_f64 v[66:67], s[30:31], v[150:151], v[70:71]
	v_add_f64 v[74:75], v[74:75], v[78:79]
	s_mov_b32 s49, 0x3fea55e2
	s_mov_b32 s48, s30
	v_mul_f64 v[228:229], v[156:157], s[38:39]
	v_fma_f64 v[234:235], s[2:3], v[104:105], v[232:233]
	v_add_f64 v[238:239], v[4:5], v[238:239]
	v_mul_f64 v[0:1], v[162:163], s[10:11]
	v_fma_f64 v[64:65], s[44:45], v[176:177], v[68:69]
	v_add_f64 v[66:67], v[66:67], v[74:75]
	;; [unrolled: 3-line block ×3, first 2 shown]
	v_fma_f64 v[2:3], s[22:23], v[212:213], v[0:1]
	v_add_f64 v[64:65], v[64:65], v[66:67]
	v_mul_f64 v[74:75], v[206:207], s[24:25]
	v_fma_f64 v[226:227], s[8:9], v[118:119], v[224:225]
	v_add_f64 v[230:231], v[230:231], v[234:235]
	v_add_f64 v[66:67], v[2:3], v[64:65]
	v_mul_f64 v[2:3], v[220:221], s[42:43]
	v_fma_f64 v[78:79], s[14:15], v[146:147], v[74:75]
	v_add_f64 v[226:227], v[226:227], v[230:231]
	v_fma_f64 v[64:65], s[10:11], v[158:159], v[2:3]
	v_add_f64 v[78:79], v[78:79], v[226:227]
	v_fmac_f64_e32 v[222:223], s[36:37], v[100:101]
	v_add_f64 v[64:65], v[64:65], v[78:79]
	v_fmac_f64_e32 v[76:77], s[40:41], v[110:111]
	;; [unrolled: 2-line block ×6, first 2 shown]
	v_add_f64 v[68:69], v[68:69], v[70:71]
	v_fma_f64 v[76:77], v[92:93], s[20:21], -v[236:237]
	v_add_f64 v[70:71], v[0:1], v[68:69]
	v_fma_f64 v[0:1], v[158:159], s[10:11], -v[2:3]
	v_fma_f64 v[2:3], v[146:147], s[14:15], -v[74:75]
	;; [unrolled: 1-line block ×3, first 2 shown]
	v_add_f64 v[76:77], v[4:5], v[76:77]
	v_mul_f64 v[230:231], v[82:83], s[28:29]
	v_fma_f64 v[72:73], v[112:113], s[28:29], -v[228:229]
	v_add_f64 v[74:75], v[74:75], v[76:77]
	v_mul_f64 v[226:227], v[134:135], s[10:11]
	v_fma_f64 v[232:233], s[34:35], v[100:101], v[230:231]
	v_fma_f64 v[68:69], v[118:119], s[8:9], -v[224:225]
	v_add_f64 v[72:73], v[72:73], v[74:75]
	v_mul_f64 v[222:223], v[130:131], s[8:9]
	v_fma_f64 v[228:229], s[22:23], v[110:111], v[226:227]
	v_add_f64 v[232:233], v[6:7], v[232:233]
	v_add_f64 v[68:69], v[68:69], v[72:73]
	v_mul_f64 v[78:79], v[136:137], s[20:21]
	v_fma_f64 v[224:225], s[48:49], v[126:127], v[222:223]
	v_add_f64 v[228:229], v[228:229], v[232:233]
	;; [unrolled: 4-line block ×3, first 2 shown]
	v_fmac_f64_e32 v[230:231], s[38:39], v[100:101]
	v_add_f64 v[68:69], v[0:1], v[2:3]
	v_mul_f64 v[0:1], v[162:163], s[14:15]
	v_fma_f64 v[72:73], s[26:27], v[176:177], v[76:77]
	v_add_f64 v[74:75], v[74:75], v[224:225]
	v_mul_f64 v[236:237], v[80:81], s[38:39]
	v_fmac_f64_e32 v[226:227], s[42:43], v[110:111]
	v_add_f64 v[230:231], v[6:7], v[230:231]
	v_fma_f64 v[2:3], s[44:45], v[212:213], v[0:1]
	v_add_f64 v[72:73], v[72:73], v[74:75]
	v_mul_f64 v[234:235], v[122:123], s[42:43]
	v_fma_f64 v[238:239], s[28:29], v[92:93], v[236:237]
	v_add_f64 v[226:227], v[226:227], v[230:231]
	v_fmac_f64_e32 v[222:223], s[30:31], v[126:127]
	v_add_f64 v[74:75], v[2:3], v[72:73]
	v_mul_f64 v[232:233], v[156:157], s[30:31]
	v_fma_f64 v[72:73], s[10:11], v[104:105], v[234:235]
	v_add_f64 v[238:239], v[4:5], v[238:239]
	v_add_f64 v[222:223], v[222:223], v[226:227]
	v_fmac_f64_e32 v[78:79], s[46:47], v[150:151]
	v_mul_f64 v[228:229], v[172:173], s[46:47]
	v_add_f64 v[72:73], v[72:73], v[238:239]
	v_fma_f64 v[238:239], s[8:9], v[112:113], v[232:233]
	v_add_f64 v[78:79], v[78:79], v[222:223]
	v_fmac_f64_e32 v[76:77], s[40:41], v[176:177]
	v_mul_f64 v[224:225], v[206:207], s[40:41]
	v_add_f64 v[72:73], v[238:239], v[72:73]
	v_fma_f64 v[238:239], s[20:21], v[118:119], v[228:229]
	v_fmac_f64_e32 v[0:1], s[24:25], v[212:213]
	v_add_f64 v[76:77], v[76:77], v[78:79]
	v_mul_f64 v[2:3], v[220:221], s[24:25]
	v_add_f64 v[72:73], v[238:239], v[72:73]
	v_fma_f64 v[238:239], s[2:3], v[146:147], v[224:225]
	v_add_f64 v[78:79], v[0:1], v[76:77]
	v_fma_f64 v[76:77], v[118:119], s[20:21], -v[228:229]
	v_fma_f64 v[228:229], v[92:93], s[28:29], -v[236:237]
	v_mul_f64 v[236:237], v[82:83], s[14:15]
	v_mov_b32_e32 v246, v178
	v_mul_f64 v[178:179], v[82:83], s[2:3]
	v_mul_f64 v[202:203], v[82:83], s[8:9]
	;; [unrolled: 1-line block ×5, first 2 shown]
	v_add_f64 v[72:73], v[238:239], v[72:73]
	v_fma_f64 v[238:239], s[14:15], v[158:159], v[2:3]
	v_mul_f64 v[240:241], v[134:135], s[20:21]
	v_fma_f64 v[0:1], v[158:159], s[14:15], -v[2:3]
	v_fma_f64 v[2:3], v[146:147], s[2:3], -v[224:225]
	;; [unrolled: 1-line block ×3, first 2 shown]
	v_add_f64 v[228:229], v[4:5], v[228:229]
	v_mul_f64 v[134:135], v[134:135], s[28:29]
	v_fma_f64 v[82:83], s[44:45], v[100:101], v[236:237]
	v_fma_f64 v[222:223], v[112:113], s[8:9], -v[232:233]
	v_add_f64 v[224:225], v[224:225], v[228:229]
	v_mul_f64 v[232:233], v[130:131], s[2:3]
	v_fma_f64 v[234:235], s[38:39], v[110:111], v[134:135]
	v_add_f64 v[82:83], v[6:7], v[82:83]
	v_add_f64 v[222:223], v[222:223], v[224:225]
	v_mul_f64 v[228:229], v[136:137], s[10:11]
	v_add_f64 v[82:83], v[234:235], v[82:83]
	v_fma_f64 v[234:235], s[26:27], v[126:127], v[232:233]
	v_add_f64 v[76:77], v[76:77], v[222:223]
	v_mul_f64 v[222:223], v[148:149], s[20:21]
	v_add_f64 v[82:83], v[234:235], v[82:83]
	v_fma_f64 v[234:235], s[42:43], v[150:151], v[228:229]
	v_add_f64 v[2:3], v[2:3], v[76:77]
	v_fma_f64 v[224:225], s[36:37], v[176:177], v[222:223]
	v_add_f64 v[82:83], v[234:235], v[82:83]
	v_add_f64 v[76:77], v[0:1], v[2:3]
	v_mul_f64 v[0:1], v[162:163], s[8:9]
	v_add_f64 v[82:83], v[224:225], v[82:83]
	v_mul_f64 v[224:225], v[80:81], s[24:25]
	v_fmac_f64_e32 v[236:237], s[24:25], v[100:101]
	v_fma_f64 v[2:3], s[30:31], v[212:213], v[0:1]
	v_mul_f64 v[122:123], v[122:123], s[34:35]
	v_fma_f64 v[80:81], s[14:15], v[92:93], v[224:225]
	v_fmac_f64_e32 v[228:229], s[22:23], v[150:151]
	v_mul_f64 v[150:151], v[136:137], s[14:15]
	v_fmac_f64_e32 v[134:135], s[34:35], v[110:111]
	v_mul_f64 v[242:243], v[136:137], s[28:29]
	v_mul_f64 v[110:111], v[136:137], s[2:3]
	v_add_f64 v[136:137], v[6:7], v[236:237]
	v_add_f64 v[82:83], v[2:3], v[82:83]
	v_mul_f64 v[2:3], v[220:221], s[48:49]
	v_mul_f64 v[156:157], v[156:157], s[40:41]
	v_fma_f64 v[220:221], s[28:29], v[104:105], v[122:123]
	v_add_f64 v[80:81], v[4:5], v[80:81]
	v_fmac_f64_e32 v[232:233], s[40:41], v[126:127]
	v_add_f64 v[134:135], v[134:135], v[136:137]
	v_mul_f64 v[172:173], v[172:173], s[22:23]
	v_add_f64 v[80:81], v[220:221], v[80:81]
	v_fma_f64 v[220:221], s[2:3], v[112:113], v[156:157]
	v_add_f64 v[134:135], v[232:233], v[134:135]
	v_mul_f64 v[206:207], v[206:207], s[46:47]
	v_add_f64 v[80:81], v[220:221], v[80:81]
	v_fma_f64 v[220:221], s[10:11], v[118:119], v[172:173]
	v_fmac_f64_e32 v[222:223], s[46:47], v[176:177]
	v_add_f64 v[134:135], v[228:229], v[134:135]
	v_mul_f64 v[166:167], v[92:93], s[2:3]
	v_mul_f64 v[196:197], v[92:93], s[8:9]
	;; [unrolled: 1-line block ×3, first 2 shown]
	v_add_f64 v[80:81], v[220:221], v[80:81]
	v_fma_f64 v[220:221], s[20:21], v[146:147], v[206:207]
	v_fmac_f64_e32 v[0:1], s[48:49], v[212:213]
	v_add_f64 v[134:135], v[222:223], v[134:135]
	v_fma_f64 v[92:93], v[92:93], s[14:15], -v[224:225]
	v_mov_b64_e32 v[244:245], v[170:171]
	v_mul_f64 v[170:171], v[104:105], s[8:9]
	v_mul_f64 v[200:201], v[104:105], s[14:15]
	v_add_f64 v[72:73], v[238:239], v[72:73]
	v_mul_f64 v[238:239], v[104:105], s[20:21]
	v_add_f64 v[80:81], v[220:221], v[80:81]
	v_fma_f64 v[220:221], s[8:9], v[158:159], v[2:3]
	v_fma_f64 v[104:105], v[104:105], s[28:29], -v[122:123]
	v_fma_f64 v[224:225], v[158:159], s[8:9], -v[2:3]
	v_add_f64 v[2:3], v[0:1], v[134:135]
	v_add_f64 v[0:1], v[4:5], v[92:93]
	v_mul_f64 v[230:231], v[112:113], s[10:11]
	v_mul_f64 v[226:227], v[130:131], s[10:11]
	v_add_f64 v[80:81], v[220:221], v[80:81]
	v_mul_f64 v[220:221], v[112:113], s[20:21]
	v_mul_f64 v[234:235], v[130:131], s[20:21]
	;; [unrolled: 1-line block ×4, first 2 shown]
	v_fma_f64 v[112:113], v[112:113], s[2:3], -v[156:157]
	v_add_f64 v[0:1], v[104:105], v[0:1]
	v_mul_f64 v[176:177], v[118:119], s[14:15]
	v_mul_f64 v[126:127], v[118:119], s[28:29]
	;; [unrolled: 1-line block ×3, first 2 shown]
	v_fma_f64 v[118:119], v[118:119], s[10:11], -v[172:173]
	v_add_f64 v[0:1], v[112:113], v[0:1]
	v_add_f64 v[112:113], v[188:189], v[130:131]
	;; [unrolled: 1-line block ×7, first 2 shown]
	v_mul_f64 v[232:233], v[148:149], s[28:29]
	v_mul_f64 v[222:223], v[148:149], s[10:11]
	;; [unrolled: 1-line block ×3, first 2 shown]
	v_add_f64 v[110:111], v[204:205], v[110:111]
	v_add_f64 v[112:113], v[112:113], v[118:119]
	v_add_f64 v[130:131], v[214:215], -v[168:169]
	v_add_f64 v[104:105], v[210:211], v[148:149]
	v_add_f64 v[110:111], v[110:111], v[112:113]
	v_add_f64 v[118:119], v[238:239], -v[174:175]
	v_add_f64 v[130:131], v[4:5], v[130:131]
	v_mul_f64 v[156:157], v[162:163], s[20:21]
	v_mul_f64 v[122:123], v[162:163], s[2:3]
	;; [unrolled: 1-line block ×3, first 2 shown]
	v_add_f64 v[104:105], v[104:105], v[110:111]
	v_add_f64 v[110:111], v[212:213], -v[180:181]
	v_add_f64 v[118:119], v[118:119], v[130:131]
	v_mul_f64 v[136:137], v[146:147], s[28:29]
	v_mul_f64 v[228:229], v[146:147], s[10:11]
	v_fma_f64 v[206:207], v[146:147], s[20:21], -v[206:207]
	v_mul_f64 v[146:147], v[146:147], s[8:9]
	v_add_f64 v[92:93], v[216:217], v[162:163]
	v_add_f64 v[100:101], v[100:101], -v[192:193]
	v_add_f64 v[110:111], v[110:111], v[118:119]
	v_mul_f64 v[172:173], v[158:159], s[20:21]
	v_mul_f64 v[236:237], v[158:159], s[2:3]
	;; [unrolled: 1-line block ×3, first 2 shown]
	v_add_f64 v[112:113], v[92:93], v[104:105]
	v_add_f64 v[104:105], v[146:147], -v[198:199]
	v_add_f64 v[100:101], v[100:101], v[110:111]
	v_add_f64 v[130:131], v[132:133], v[202:203]
	v_add_f64 v[120:121], v[196:197], -v[120:121]
	v_add_f64 v[86:87], v[86:87], v[178:179]
	v_add_f64 v[84:85], v[166:167], -v[84:85]
	v_add_f64 v[92:93], v[158:159], -v[186:187]
	v_add_f64 v[100:101], v[104:105], v[100:101]
	v_add_f64 v[130:131], v[6:7], v[130:131]
	;; [unrolled: 1-line block ×18, first 2 shown]
	v_add_f64 v[124:125], v[200:201], -v[124:125]
	v_add_f64 v[6:7], v[6:7], v[22:23]
	v_add_f64 v[4:5], v[4:5], v[20:21]
	v_add_f64 v[100:101], v[160:161], v[222:223]
	v_add_f64 v[104:105], v[104:105], v[118:119]
	v_add_f64 v[118:119], v[220:221], -v[128:129]
	v_add_f64 v[120:121], v[124:125], v[120:121]
	v_add_f64 v[6:7], v[6:7], v[30:31]
	v_add_f64 v[4:5], v[4:5], v[28:29]
	v_add_f64 v[100:101], v[100:101], v[104:105]
	;; [unrolled: 5-line block ×3, first 2 shown]
	v_add_f64 v[122:123], v[92:93], v[100:101]
	v_add_f64 v[100:101], v[228:229], -v[142:143]
	v_add_f64 v[104:105], v[104:105], v[118:119]
	v_add_f64 v[96:97], v[96:97], v[226:227]
	v_add_f64 v[86:87], v[90:91], v[86:87]
	v_add_f64 v[6:7], v[6:7], v[38:39]
	v_add_f64 v[4:5], v[4:5], v[36:37]
	v_add_f64 v[92:93], v[236:237], -v[154:155]
	v_add_f64 v[100:101], v[100:101], v[104:105]
	v_add_f64 v[102:103], v[102:103], v[150:151]
	v_add_f64 v[86:87], v[96:97], v[86:87]
	v_add_f64 v[88:89], v[170:171], -v[88:89]
	v_add_f64 v[6:7], v[6:7], v[46:47]
	v_add_f64 v[4:5], v[4:5], v[44:45]
	v_add_f64 v[120:121], v[92:93], v[100:101]
	v_add_f64 v[100:101], v[108:109], v[232:233]
	v_add_f64 v[86:87], v[102:103], v[86:87]
	v_add_f64 v[94:95], v[230:231], -v[94:95]
	v_add_f64 v[84:85], v[88:89], v[84:85]
	v_add_f64 v[6:7], v[6:7], v[50:51]
	;; [unrolled: 6-line block ×3, first 2 shown]
	v_add_f64 v[4:5], v[4:5], v[52:53]
	v_add_f64 v[86:87], v[92:93], v[86:87]
	v_add_f64 v[92:93], v[136:137], -v[106:107]
	v_add_f64 v[84:85], v[96:97], v[84:85]
	v_add_f64 v[6:7], v[6:7], v[58:59]
	;; [unrolled: 1-line block ×4, first 2 shown]
	v_mov_b32_e32 v178, v246
	v_add_f64 v[90:91], v[172:173], -v[114:115]
	v_mov_b64_e32 v[170:171], v[244:245]
	v_add_f64 v[84:85], v[92:93], v[84:85]
	v_add_f64 v[6:7], v[6:7], v[62:63]
	;; [unrolled: 1-line block ×3, first 2 shown]
	v_lshlrev_b32_e32 v8, 4, v185
	v_add_f64 v[0:1], v[224:225], v[0:1]
	v_add_f64 v[84:85], v[90:91], v[84:85]
	ds_write_b128 v8, v[4:7]
	ds_write_b128 v8, v[84:87] offset:16
	ds_write_b128 v8, v[120:123] offset:32
	;; [unrolled: 1-line block ×12, first 2 shown]
.LBB0_7:
	s_or_b64 exec, exec, s[18:19]
	s_waitcnt lgkmcnt(0)
	s_barrier
	ds_read_b128 v[44:47], v184
	ds_read_b128 v[48:51], v184 offset:2496
	ds_read_b128 v[56:59], v184 offset:16224
	;; [unrolled: 1-line block ×9, first 2 shown]
	s_movk_i32 s2, 0x4e
	v_cmp_gt_u16_e64 s[2:3], s2, v170
	s_and_saveexec_b64 s[8:9], s[2:3]
	s_cbranch_execz .LBB0_9
; %bb.8:
	ds_read_b128 v[24:27], v184 offset:12480
	ds_read_b128 v[40:43], v184 offset:26208
.LBB0_9:
	s_or_b64 exec, exec, s[8:9]
	s_mov_b64 s[8:9], 0x138
	v_lshl_add_u64 v[2:3], v[170:171], 0, s[8:9]
	s_mov_b64 s[8:9], 0x1d4
	v_lshl_add_u64 v[4:5], v[170:171], 0, s[8:9]
	;; [unrolled: 2-line block ×3, first 2 shown]
	s_movk_i32 s8, 0x4f
	v_mul_lo_u16_sdwa v0, v170, s8 dst_sel:DWORD dst_unused:UNUSED_PAD src0_sel:BYTE_0 src1_sel:DWORD
	v_lshrrev_b16_e32 v1, 10, v0
	v_mul_lo_u16_e32 v0, 13, v1
	v_sub_u16_e32 v0, v170, v0
	v_and_b32_e32 v8, 0xff, v0
	v_add_u16_e32 v0, 0x9c, v170
	v_mul_u32_u24_e32 v5, 0x4ec5, v0
	v_lshrrev_b32_e32 v9, 18, v5
	v_mul_lo_u16_e32 v5, 13, v9
	v_lshlrev_b32_e32 v3, 4, v8
	s_movk_i32 s8, 0x4ec5
	v_sub_u16_e32 v10, v0, v5
	v_lshlrev_b32_e32 v5, 4, v10
	global_load_dwordx4 v[36:39], v3, s[0:1]
	global_load_dwordx4 v[32:35], v5, s[0:1]
	v_mul_u32_u24_sdwa v3, v2, s8 dst_sel:DWORD dst_unused:UNUSED_PAD src0_sel:WORD_0 src1_sel:DWORD
	v_lshrrev_b32_e32 v11, 18, v3
	v_mul_lo_u16_e32 v3, 13, v11
	v_sub_u16_e32 v16, v2, v3
	v_mul_u32_u24_sdwa v3, v4, s8 dst_sel:DWORD dst_unused:UNUSED_PAD src0_sel:WORD_0 src1_sel:DWORD
	v_lshrrev_b32_e32 v17, 18, v3
	v_mul_lo_u16_e32 v3, 13, v17
	v_sub_u16_e32 v18, v4, v3
	v_lshlrev_b32_e32 v2, 4, v16
	v_lshlrev_b32_e32 v3, 4, v18
	global_load_dwordx4 v[96:99], v2, s[0:1]
	global_load_dwordx4 v[180:183], v3, s[0:1]
	v_mul_u32_u24_sdwa v2, v6, s8 dst_sel:DWORD dst_unused:UNUSED_PAD src0_sel:WORD_0 src1_sel:DWORD
	v_add_u16_e32 v3, 0x30c, v170
	v_lshrrev_b32_e32 v19, 18, v2
	v_mul_u32_u24_e32 v4, 0x4ec5, v3
	v_mul_lo_u16_e32 v2, 13, v19
	v_lshrrev_b32_e32 v168, 18, v4
	v_sub_u16_e32 v20, v6, v2
	v_mul_lo_u16_e32 v4, 13, v168
	v_lshlrev_b32_e32 v2, 4, v20
	v_sub_u16_e32 v171, v3, v4
	global_load_dwordx4 v[104:107], v2, s[0:1]
	v_lshlrev_b32_e32 v2, 4, v171
	global_load_dwordx4 v[100:103], v2, s[0:1]
	v_mul_u32_u24_e32 v1, 26, v1
	v_add_lshl_u32 v173, v1, v8, 4
	v_mad_legacy_u16 v1, v9, 26, v10
	s_load_dwordx4 s[8:11], s[4:5], 0x0
	v_lshlrev_b32_e32 v179, 4, v1
	v_mad_legacy_u16 v1, v11, 26, v16
	v_lshlrev_b32_e32 v206, 4, v1
	v_mad_legacy_u16 v1, v17, 26, v18
	;; [unrolled: 2-line block ×3, first 2 shown]
	v_lshlrev_b32_e32 v1, 4, v1
	v_accvgpr_write_b32 a52, v1
	s_waitcnt lgkmcnt(0)
	s_barrier
	s_waitcnt vmcnt(5)
	v_mul_f64 v[2:3], v[74:75], v[38:39]
	v_mul_f64 v[4:5], v[72:73], v[38:39]
	s_waitcnt vmcnt(4)
	v_mul_f64 v[6:7], v[58:59], v[34:35]
	v_mul_f64 v[76:77], v[56:57], v[34:35]
	v_fma_f64 v[2:3], v[72:73], v[36:37], -v[2:3]
	v_fmac_f64_e32 v[4:5], v[74:75], v[36:37]
	v_fma_f64 v[6:7], v[56:57], v[32:33], -v[6:7]
	v_fmac_f64_e32 v[76:77], v[58:59], v[32:33]
	v_add_f64 v[56:57], v[48:49], -v[6:7]
	v_add_f64 v[58:59], v[50:51], -v[76:77]
	v_fma_f64 v[48:49], v[48:49], 2.0, -v[56:57]
	s_waitcnt vmcnt(3)
	v_mul_f64 v[78:79], v[62:63], v[98:99]
	v_mul_f64 v[80:81], v[60:61], v[98:99]
	s_waitcnt vmcnt(2)
	v_mul_f64 v[82:83], v[70:71], v[182:183]
	v_mul_f64 v[84:85], v[68:69], v[182:183]
	v_fma_f64 v[60:61], v[60:61], v[96:97], -v[78:79]
	v_fmac_f64_e32 v[80:81], v[62:63], v[96:97]
	v_fma_f64 v[68:69], v[68:69], v[180:181], -v[82:83]
	v_fmac_f64_e32 v[84:85], v[70:71], v[180:181]
	v_accvgpr_write_b32 a20, v96
	v_add_f64 v[60:61], v[52:53], -v[60:61]
	v_add_f64 v[62:63], v[54:55], -v[80:81]
	v_add_f64 v[72:73], v[28:29], -v[68:69]
	s_waitcnt vmcnt(1)
	v_mul_f64 v[86:87], v[66:67], v[106:107]
	v_mul_f64 v[88:89], v[64:65], v[106:107]
	s_waitcnt vmcnt(0)
	v_mul_f64 v[90:91], v[42:43], v[102:103]
	v_mul_f64 v[94:95], v[40:41], v[102:103]
	v_fma_f64 v[64:65], v[64:65], v[104:105], -v[86:87]
	v_fmac_f64_e32 v[88:89], v[66:67], v[104:105]
	v_fma_f64 v[66:67], v[40:41], v[100:101], -v[90:91]
	v_fmac_f64_e32 v[94:95], v[42:43], v[100:101]
	v_accvgpr_write_b32 a36, v104
	v_accvgpr_write_b32 a32, v100
	v_add_f64 v[40:41], v[44:45], -v[2:3]
	v_add_f64 v[42:43], v[46:47], -v[4:5]
	;; [unrolled: 1-line block ×7, first 2 shown]
	v_accvgpr_write_b32 a21, v97
	v_accvgpr_write_b32 a22, v98
	;; [unrolled: 1-line block ×9, first 2 shown]
	v_fma_f64 v[44:45], v[44:45], 2.0, -v[40:41]
	v_fma_f64 v[46:47], v[46:47], 2.0, -v[42:43]
	;; [unrolled: 1-line block ×11, first 2 shown]
	ds_write_b128 v173, v[44:47]
	ds_write_b128 v173, v[40:43] offset:208
	ds_write_b128 v179, v[48:51]
	ds_write_b128 v179, v[56:59] offset:208
	;; [unrolled: 2-line block ×5, first 2 shown]
	s_and_saveexec_b64 s[4:5], s[2:3]
	s_cbranch_execz .LBB0_11
; %bb.10:
	v_mad_legacy_u16 v1, v168, 26, v171
	v_lshlrev_b32_e32 v1, 4, v1
	ds_write_b128 v1, v[88:91]
	ds_write_b128 v1, v[92:95] offset:208
.LBB0_11:
	s_or_b64 exec, exec, s[4:5]
	s_waitcnt lgkmcnt(0)
	s_barrier
	ds_read_b128 v[76:79], v184
	ds_read_b128 v[112:115], v184 offset:4576
	ds_read_b128 v[108:111], v184 offset:9152
	;; [unrolled: 1-line block ×5, first 2 shown]
	s_movk_i32 s4, 0x82
	v_cmp_gt_u16_e64 s[4:5], s4, v170
	s_and_saveexec_b64 s[14:15], s[4:5]
	s_cbranch_execz .LBB0_13
; %bb.12:
	ds_read_b128 v[68:71], v184 offset:2496
	ds_read_b128 v[72:75], v184 offset:7072
	;; [unrolled: 1-line block ×6, first 2 shown]
.LBB0_13:
	s_or_b64 exec, exec, s[14:15]
	s_movk_i32 s14, 0x4f
	v_mul_lo_u16_sdwa v1, v170, s14 dst_sel:DWORD dst_unused:UNUSED_PAD src0_sel:BYTE_0 src1_sel:DWORD
	v_lshrrev_b16_e32 v8, 11, v1
	v_mul_lo_u16_e32 v1, 26, v8
	v_sub_u16_e32 v2, v170, v1
	v_mul_u32_u24_e32 v1, 0x4ec5, v0
	v_lshrrev_b32_e32 v169, 19, v1
	v_mul_lo_u16_e32 v1, 26, v169
	v_sub_u16_e32 v172, v0, v1
	v_mul_lo_u16_e32 v0, 0x50, v172
	v_mov_b32_e32 v1, 0
	v_lshl_add_u64 v[0:1], s[0:1], 0, v[0:1]
	v_and_b32_e32 v9, 0xff, v2
	s_movk_i32 s14, 0x50
	v_mov_b64_e32 v[2:3], s[0:1]
	global_load_dwordx4 v[174:177], v[0:1], off offset:240
	global_load_dwordx4 v[16:19], v[0:1], off offset:224
	v_mad_u64_u32 v[2:3], s[14:15], v9, s14, v[2:3]
	global_load_dwordx4 v[20:23], v[0:1], off offset:256
	global_load_dwordx4 v[48:51], v[0:1], off offset:272
	;; [unrolled: 1-line block ×8, first 2 shown]
	s_mov_b32 s14, 0xe8584caa
	s_mov_b32 s15, 0x3febb67a
	;; [unrolled: 1-line block ×4, first 2 shown]
	s_movk_i32 s20, 0x9c
	s_waitcnt lgkmcnt(0)
	s_barrier
	s_waitcnt vmcnt(5)
	v_mul_f64 v[42:43], v[114:115], v[66:67]
	v_mul_f64 v[4:5], v[82:83], v[18:19]
	;; [unrolled: 1-line block ×3, first 2 shown]
	s_waitcnt vmcnt(4)
	v_mul_f64 v[46:47], v[110:111], v[62:63]
	s_waitcnt vmcnt(3)
	v_mul_f64 v[118:119], v[106:107], v[58:59]
	v_mul_f64 v[0:1], v[80:81], v[18:19]
	;; [unrolled: 1-line block ×5, first 2 shown]
	s_waitcnt vmcnt(2)
	v_mul_f64 v[122:123], v[102:103], v[138:139]
	v_mul_f64 v[124:125], v[100:101], v[138:139]
	s_waitcnt vmcnt(1)
	v_mul_f64 v[126:127], v[98:99], v[134:135]
	v_mul_f64 v[128:129], v[96:97], v[134:135]
	s_waitcnt vmcnt(0)
	v_mul_f64 v[130:131], v[74:75], v[54:55]
	v_fma_f64 v[24:25], v[80:81], v[16:17], -v[4:5]
	v_fma_f64 v[26:27], v[84:85], v[174:175], -v[6:7]
	;; [unrolled: 1-line block ×5, first 2 shown]
	v_mul_f64 v[28:29], v[90:91], v[22:23]
	v_mul_f64 v[30:31], v[94:95], v[50:51]
	;; [unrolled: 1-line block ×4, first 2 shown]
	v_fmac_f64_e32 v[0:1], v[82:83], v[16:17]
	v_fmac_f64_e32 v[12:13], v[90:91], v[20:21]
	;; [unrolled: 1-line block ×4, first 2 shown]
	v_fma_f64 v[80:81], v[100:101], v[136:137], -v[122:123]
	v_fmac_f64_e32 v[124:125], v[102:103], v[136:137]
	v_fma_f64 v[82:83], v[96:97], v[132:133], -v[126:127]
	v_fmac_f64_e32 v[128:129], v[98:99], v[132:133]
	v_fma_f64 v[42:43], v[72:73], v[52:53], -v[130:131]
	v_add_f64 v[72:73], v[76:77], v[6:7]
	v_add_f64 v[90:91], v[4:5], v[46:47]
	v_mul_f64 v[2:3], v[84:85], v[176:177]
	v_mul_f64 v[14:15], v[92:93], v[50:51]
	v_fma_f64 v[28:29], v[88:89], v[20:21], -v[28:29]
	v_fma_f64 v[30:31], v[92:93], v[48:49], -v[30:31]
	v_fmac_f64_e32 v[44:45], v[114:115], v[64:65]
	v_fmac_f64_e32 v[40:41], v[74:75], v[52:53]
	v_add_f64 v[74:75], v[6:7], v[80:81]
	v_add_f64 v[88:89], v[116:117], v[124:125]
	v_add_f64 v[6:7], v[6:7], -v[80:81]
	v_add_f64 v[92:93], v[46:47], v[82:83]
	v_add_f64 v[72:73], v[72:73], v[80:81]
	;; [unrolled: 1-line block ×4, first 2 shown]
	v_fmac_f64_e32 v[2:3], v[86:87], v[174:175]
	v_fmac_f64_e32 v[14:15], v[94:95], v[48:49]
	v_add_f64 v[84:85], v[116:117], -v[124:125]
	v_add_f64 v[86:87], v[78:79], v[116:117]
	v_add_f64 v[94:95], v[120:121], -v[128:129]
	v_fmac_f64_e32 v[76:77], -0.5, v[74:75]
	v_fmac_f64_e32 v[78:79], -0.5, v[88:89]
	;; [unrolled: 1-line block ×3, first 2 shown]
	v_add_f64 v[88:89], v[44:45], v[120:121]
	v_fmac_f64_e32 v[44:45], -0.5, v[90:91]
	v_add_f64 v[46:47], v[46:47], -v[82:83]
	v_add_f64 v[74:75], v[86:87], v[124:125]
	v_fma_f64 v[86:87], s[14:15], v[84:85], v[76:77]
	v_fmac_f64_e32 v[76:77], s[18:19], v[84:85]
	v_fma_f64 v[84:85], s[18:19], v[6:7], v[78:79]
	v_fmac_f64_e32 v[78:79], s[14:15], v[6:7]
	;; [unrolled: 2-line block ×4, first 2 shown]
	v_mul_f64 v[46:47], v[82:83], s[14:15]
	v_mul_f64 v[90:91], v[4:5], -0.5
	v_fmac_f64_e32 v[46:47], 0.5, v[6:7]
	v_fmac_f64_e32 v[90:91], s[14:15], v[44:45]
	v_mul_f64 v[6:7], v[6:7], s[18:19]
	v_mul_f64 v[44:45], v[44:45], -0.5
	v_add_f64 v[88:89], v[88:89], v[128:129]
	v_fmac_f64_e32 v[6:7], 0.5, v[82:83]
	v_fmac_f64_e32 v[44:45], s[18:19], v[4:5]
	v_add_f64 v[4:5], v[24:25], v[28:29]
	v_add_f64 v[94:95], v[74:75], v[88:89]
	;; [unrolled: 1-line block ×3, first 2 shown]
	v_add_f64 v[106:107], v[74:75], -v[88:89]
	v_add_f64 v[114:115], v[84:85], -v[6:7]
	v_fma_f64 v[74:75], -0.5, v[4:5], v[68:69]
	v_add_f64 v[4:5], v[0:1], v[12:13]
	v_add_f64 v[6:7], v[2:3], v[14:15]
	;; [unrolled: 1-line block ×5, first 2 shown]
	v_add_f64 v[112:113], v[86:87], -v[46:47]
	v_add_f64 v[116:117], v[76:77], -v[90:91]
	v_add_f64 v[118:119], v[78:79], -v[44:45]
	v_fma_f64 v[78:79], -0.5, v[4:5], v[70:71]
	v_add_f64 v[4:5], v[26:27], v[30:31]
	v_fma_f64 v[86:87], -0.5, v[6:7], v[40:41]
	v_add_f64 v[90:91], v[26:27], -v[30:31]
	v_fma_f64 v[82:83], -0.5, v[4:5], v[42:43]
	v_add_f64 v[88:89], v[2:3], -v[14:15]
	v_fma_f64 v[6:7], s[14:15], v[90:91], v[86:87]
	v_fma_f64 v[4:5], s[18:19], v[88:89], v[82:83]
	v_mul_f64 v[76:77], v[6:7], -0.5
	v_add_f64 v[92:93], v[72:73], v[80:81]
	v_add_f64 v[104:105], v[72:73], -v[80:81]
	v_add_f64 v[80:81], v[0:1], -v[12:13]
	;; [unrolled: 1-line block ×3, first 2 shown]
	v_mul_f64 v[72:73], v[4:5], -0.5
	v_fmac_f64_e32 v[76:77], s[18:19], v[4:5]
	v_mul_u32_u24_e32 v4, 0x9c, v8
	v_accvgpr_write_b32 a27, v19
	v_accvgpr_write_b32 a31, v23
	;; [unrolled: 1-line block ×6, first 2 shown]
	v_fma_f64 v[44:45], s[18:19], v[80:81], v[74:75]
	v_fma_f64 v[46:47], s[14:15], v[84:85], v[78:79]
	v_fmac_f64_e32 v[72:73], s[14:15], v[6:7]
	v_add_lshl_u32 v4, v4, v9, 4
	v_accvgpr_write_b32 a26, v18
	v_accvgpr_write_b32 a25, v17
	;; [unrolled: 1-line block ×18, first 2 shown]
	v_add_f64 v[108:109], v[44:45], -v[72:73]
	v_add_f64 v[110:111], v[46:47], -v[76:77]
	v_accvgpr_write_b32 a53, v4
	ds_write_b128 v4, v[92:95]
	ds_write_b128 v4, v[96:99] offset:416
	ds_write_b128 v4, v[100:103] offset:832
	;; [unrolled: 1-line block ×5, first 2 shown]
	s_and_saveexec_b64 s[18:19], s[4:5]
	s_cbranch_execz .LBB0_15
; %bb.14:
	v_mul_f64 v[6:7], v[84:85], s[14:15]
	v_mul_f64 v[84:85], v[90:91], s[14:15]
	v_add_f64 v[0:1], v[70:71], v[0:1]
	v_mul_f64 v[4:5], v[80:81], s[14:15]
	v_mul_f64 v[80:81], v[88:89], s[14:15]
	v_add_f64 v[6:7], v[78:79], -v[6:7]
	v_add_f64 v[78:79], v[86:87], -v[84:85]
	v_add_f64 v[12:13], v[0:1], v[12:13]
	v_add_f64 v[0:1], v[40:41], v[2:3]
	;; [unrolled: 1-line block ×4, first 2 shown]
	v_mul_f64 v[70:71], v[78:79], s[14:15]
	v_add_f64 v[0:1], v[68:69], v[24:25]
	v_mul_f64 v[80:81], v[82:83], s[14:15]
	v_add_f64 v[4:5], v[4:5], v[74:75]
	v_fmac_f64_e32 v[70:71], 0.5, v[82:83]
	v_add_f64 v[28:29], v[0:1], v[28:29]
	v_add_f64 v[0:1], v[42:43], v[26:27]
	v_fma_f64 v[84:85], v[78:79], 0.5, -v[80:81]
	v_add_f64 v[78:79], v[4:5], -v[70:71]
	v_add_f64 v[42:43], v[0:1], v[30:31]
	v_add_f64 v[24:25], v[4:5], v[70:71]
	v_mad_legacy_u16 v4, v169, s20, v172
	v_add_f64 v[0:1], v[28:29], -v[42:43]
	v_add_f64 v[30:31], v[12:13], v[40:41]
	v_add_f64 v[28:29], v[28:29], v[42:43]
	v_lshlrev_b32_e32 v4, 4, v4
	v_add_f64 v[80:81], v[6:7], -v[84:85]
	v_add_f64 v[2:3], v[12:13], -v[40:41]
	v_add_f64 v[14:15], v[46:47], v[76:77]
	v_add_f64 v[26:27], v[6:7], v[84:85]
	;; [unrolled: 1-line block ×3, first 2 shown]
	ds_write_b128 v4, v[28:31]
	ds_write_b128 v4, v[24:27] offset:416
	ds_write_b128 v4, v[12:15] offset:832
	;; [unrolled: 1-line block ×5, first 2 shown]
.LBB0_15:
	s_or_b64 exec, exec, s[18:19]
	s_movk_i32 s14, 0xa0
	v_mov_b64_e32 v[0:1], s[0:1]
	v_mad_u64_u32 v[0:1], s[0:1], v170, s14, v[0:1]
	s_waitcnt lgkmcnt(0)
	s_barrier
	global_load_dwordx4 v[80:83], v[0:1], off offset:2288
	global_load_dwordx4 v[76:79], v[0:1], off offset:2304
	;; [unrolled: 1-line block ×10, first 2 shown]
	ds_read_b128 v[40:43], v184
	ds_read_b128 v[24:27], v184 offset:2496
	ds_read_b128 v[28:31], v184 offset:4992
	;; [unrolled: 1-line block ×10, first 2 shown]
	s_mov_b32 s22, 0xf8bb580b
	s_mov_b32 s20, 0x43842ef
	;; [unrolled: 1-line block ×26, first 2 shown]
	s_waitcnt vmcnt(9) lgkmcnt(9)
	v_mul_f64 v[4:5], v[26:27], v[82:83]
	v_mul_f64 v[6:7], v[24:25], v[82:83]
	s_waitcnt vmcnt(8) lgkmcnt(8)
	v_mul_f64 v[140:141], v[30:31], v[78:79]
	v_mul_f64 v[142:143], v[28:29], v[78:79]
	s_waitcnt vmcnt(6) lgkmcnt(6)
	v_mul_f64 v[0:1], v[112:113], v[70:71]
	s_waitcnt vmcnt(5) lgkmcnt(5)
	v_mul_f64 v[12:13], v[116:117], v[98:99]
	v_fma_f64 v[4:5], v[24:25], v[80:81], -v[4:5]
	v_fmac_f64_e32 v[6:7], v[26:27], v[80:81]
	v_mul_f64 v[144:145], v[46:47], v[74:75]
	v_mul_f64 v[146:147], v[44:45], v[74:75]
	;; [unrolled: 1-line block ×4, first 2 shown]
	v_fma_f64 v[140:141], v[28:29], v[76:77], -v[140:141]
	v_fmac_f64_e32 v[142:143], v[30:31], v[76:77]
	v_fmac_f64_e32 v[0:1], v[114:115], v[68:69]
	;; [unrolled: 1-line block ×3, first 2 shown]
	v_add_f64 v[114:115], v[40:41], v[4:5]
	v_add_f64 v[118:119], v[42:43], v[6:7]
	v_fma_f64 v[44:45], v[44:45], v[72:73], -v[144:145]
	v_fmac_f64_e32 v[146:147], v[46:47], v[72:73]
	v_add_f64 v[114:115], v[114:115], v[140:141]
	v_add_f64 v[118:119], v[118:119], v[142:143]
	v_fma_f64 v[28:29], v[112:113], v[68:69], -v[148:149]
	v_add_f64 v[114:115], v[114:115], v[44:45]
	v_add_f64 v[118:119], v[118:119], v[146:147]
	s_waitcnt vmcnt(4) lgkmcnt(4)
	v_mul_f64 v[152:153], v[122:123], v[94:95]
	v_mul_f64 v[14:15], v[120:121], v[94:95]
	v_fma_f64 v[24:25], v[116:117], v[96:97], -v[150:151]
	v_add_f64 v[114:115], v[114:115], v[28:29]
	v_add_f64 v[118:119], v[118:119], v[0:1]
	s_waitcnt vmcnt(3) lgkmcnt(3)
	v_mul_f64 v[154:155], v[126:127], v[90:91]
	v_mul_f64 v[2:3], v[124:125], v[90:91]
	v_fma_f64 v[26:27], v[120:121], v[92:93], -v[152:153]
	v_fmac_f64_e32 v[14:15], v[122:123], v[92:93]
	v_add_f64 v[114:115], v[114:115], v[24:25]
	v_add_f64 v[118:119], v[118:119], v[12:13]
	s_waitcnt vmcnt(2) lgkmcnt(2)
	v_mul_f64 v[156:157], v[130:131], v[86:87]
	v_mul_f64 v[158:159], v[128:129], v[86:87]
	v_fma_f64 v[30:31], v[124:125], v[88:89], -v[154:155]
	v_fmac_f64_e32 v[2:3], v[126:127], v[88:89]
	v_add_f64 v[114:115], v[114:115], v[26:27]
	v_add_f64 v[118:119], v[118:119], v[14:15]
	s_waitcnt vmcnt(1) lgkmcnt(1)
	v_mul_f64 v[160:161], v[134:135], v[106:107]
	v_mul_f64 v[162:163], v[132:133], v[106:107]
	s_waitcnt vmcnt(0) lgkmcnt(0)
	v_mul_f64 v[166:167], v[136:137], v[102:103]
	v_fma_f64 v[46:47], v[128:129], v[84:85], -v[156:157]
	v_fmac_f64_e32 v[158:159], v[130:131], v[84:85]
	v_add_f64 v[114:115], v[114:115], v[30:31]
	v_add_f64 v[118:119], v[118:119], v[2:3]
	v_mul_f64 v[164:165], v[138:139], v[102:103]
	v_fma_f64 v[116:117], v[132:133], v[104:105], -v[160:161]
	v_fmac_f64_e32 v[162:163], v[134:135], v[104:105]
	v_fmac_f64_e32 v[166:167], v[138:139], v[100:101]
	v_add_f64 v[114:115], v[114:115], v[46:47]
	v_add_f64 v[118:119], v[118:119], v[158:159]
	v_fma_f64 v[112:113], v[136:137], v[100:101], -v[164:165]
	v_add_f64 v[122:123], v[6:7], v[166:167]
	v_add_f64 v[6:7], v[6:7], -v[166:167]
	v_add_f64 v[114:115], v[114:115], v[116:117]
	v_add_f64 v[118:119], v[118:119], v[162:163]
	;; [unrolled: 1-line block ×3, first 2 shown]
	v_add_f64 v[4:5], v[4:5], -v[112:113]
	v_add_f64 v[112:113], v[114:115], v[112:113]
	v_add_f64 v[114:115], v[118:119], v[166:167]
	v_mul_f64 v[118:119], v[6:7], s[22:23]
	v_mul_f64 v[130:131], v[6:7], s[18:19]
	;; [unrolled: 1-line block ×5, first 2 shown]
	v_fma_f64 v[124:125], v[120:121], s[24:25], -v[118:119]
	v_mul_f64 v[126:127], v[4:5], s[22:23]
	v_fmac_f64_e32 v[118:119], s[24:25], v[120:121]
	v_fma_f64 v[132:133], v[120:121], s[0:1], -v[130:131]
	v_mul_f64 v[134:135], v[4:5], s[18:19]
	v_fmac_f64_e32 v[130:131], s[0:1], v[120:121]
	;; [unrolled: 3-line block ×5, first 2 shown]
	v_add_f64 v[120:121], v[142:143], -v[162:163]
	v_add_f64 v[124:125], v[40:41], v[124:125]
	v_fma_f64 v[128:129], s[24:25], v[122:123], v[126:127]
	v_add_f64 v[118:119], v[40:41], v[118:119]
	v_fma_f64 v[126:127], v[122:123], s[24:25], -v[126:127]
	v_add_f64 v[132:133], v[40:41], v[132:133]
	v_fma_f64 v[136:137], s[0:1], v[122:123], v[134:135]
	v_add_f64 v[130:131], v[40:41], v[130:131]
	v_fma_f64 v[134:135], v[122:123], s[0:1], -v[134:135]
	;; [unrolled: 4-line block ×5, first 2 shown]
	v_add_f64 v[40:41], v[140:141], v[116:117]
	v_mul_f64 v[122:123], v[120:121], s[18:19]
	v_add_f64 v[116:117], v[140:141], -v[116:117]
	v_fma_f64 v[140:141], v[40:41], s[0:1], -v[122:123]
	v_add_f64 v[128:129], v[42:43], v[128:129]
	v_add_f64 v[126:127], v[42:43], v[126:127]
	;; [unrolled: 1-line block ×12, first 2 shown]
	v_mul_f64 v[140:141], v[116:117], s[18:19]
	v_fmac_f64_e32 v[122:123], s[0:1], v[40:41]
	v_add_f64 v[118:119], v[122:123], v[118:119]
	v_fma_f64 v[122:123], v[42:43], s[0:1], -v[140:141]
	v_add_f64 v[122:123], v[122:123], v[126:127]
	v_mul_f64 v[126:127], v[120:121], s[28:29]
	v_fma_f64 v[142:143], s[0:1], v[42:43], v[140:141]
	v_fma_f64 v[140:141], v[40:41], s[26:27], -v[126:127]
	v_add_f64 v[132:133], v[140:141], v[132:133]
	v_mul_f64 v[140:141], v[116:117], s[28:29]
	v_fmac_f64_e32 v[126:127], s[26:27], v[40:41]
	v_add_f64 v[126:127], v[126:127], v[130:131]
	v_fma_f64 v[130:131], v[42:43], s[26:27], -v[140:141]
	v_add_f64 v[128:129], v[142:143], v[128:129]
	v_fma_f64 v[142:143], s[26:27], v[42:43], v[140:141]
	v_add_f64 v[130:131], v[130:131], v[134:135]
	v_mul_f64 v[134:135], v[120:121], s[40:41]
	v_add_f64 v[136:137], v[142:143], v[136:137]
	v_fma_f64 v[140:141], v[40:41], s[30:31], -v[134:135]
	v_mul_f64 v[142:143], v[116:117], s[40:41]
	v_fmac_f64_e32 v[134:135], s[30:31], v[40:41]
	v_add_f64 v[140:141], v[140:141], v[144:145]
	v_fma_f64 v[144:145], s[30:31], v[42:43], v[142:143]
	v_add_f64 v[134:135], v[134:135], v[138:139]
	v_fma_f64 v[138:139], v[42:43], s[30:31], -v[142:143]
	v_mul_f64 v[142:143], v[120:121], s[38:39]
	v_add_f64 v[144:145], v[144:145], v[150:151]
	v_add_f64 v[138:139], v[138:139], v[148:149]
	v_fma_f64 v[148:149], v[40:41], s[14:15], -v[142:143]
	v_mul_f64 v[150:151], v[116:117], s[38:39]
	v_fmac_f64_e32 v[142:143], s[14:15], v[40:41]
	v_mul_f64 v[120:121], v[120:121], s[36:37]
	v_mul_f64 v[116:117], v[116:117], s[36:37]
	v_add_f64 v[142:143], v[142:143], v[152:153]
	v_fma_f64 v[152:153], v[40:41], s[24:25], -v[120:121]
	v_fmac_f64_e32 v[120:121], s[24:25], v[40:41]
	v_fma_f64 v[40:41], v[42:43], s[24:25], -v[116:117]
	v_add_f64 v[148:149], v[148:149], v[154:155]
	v_fma_f64 v[154:155], s[14:15], v[42:43], v[150:151]
	v_fma_f64 v[150:151], v[42:43], s[14:15], -v[150:151]
	v_add_f64 v[4:5], v[40:41], v[4:5]
	v_add_f64 v[40:41], v[44:45], v[46:47]
	v_add_f64 v[44:45], v[44:45], -v[46:47]
	v_add_f64 v[46:47], v[146:147], -v[158:159]
	v_add_f64 v[150:151], v[150:151], v[156:157]
	v_fma_f64 v[156:157], s[24:25], v[42:43], v[116:117]
	v_mul_f64 v[116:117], v[46:47], s[20:21]
	v_add_f64 v[6:7], v[120:121], v[6:7]
	v_fma_f64 v[120:121], v[40:41], s[14:15], -v[116:117]
	v_add_f64 v[42:43], v[146:147], v[158:159]
	v_add_f64 v[120:121], v[120:121], v[124:125]
	v_mul_f64 v[124:125], v[44:45], s[20:21]
	v_fmac_f64_e32 v[116:117], s[14:15], v[40:41]
	v_add_f64 v[116:117], v[116:117], v[118:119]
	v_fma_f64 v[118:119], v[42:43], s[14:15], -v[124:125]
	v_add_f64 v[118:119], v[118:119], v[122:123]
	v_mul_f64 v[122:123], v[46:47], s[40:41]
	v_fma_f64 v[146:147], s[14:15], v[42:43], v[124:125]
	v_fma_f64 v[124:125], v[40:41], s[30:31], -v[122:123]
	v_add_f64 v[124:125], v[124:125], v[132:133]
	v_mul_f64 v[132:133], v[44:45], s[40:41]
	v_fmac_f64_e32 v[122:123], s[30:31], v[40:41]
	v_add_f64 v[122:123], v[122:123], v[126:127]
	v_fma_f64 v[126:127], v[42:43], s[30:31], -v[132:133]
	s_mov_b32 s19, 0x3fed1bb4
	v_add_f64 v[126:127], v[126:127], v[130:131]
	v_mul_f64 v[130:131], v[46:47], s[18:19]
	v_add_f64 v[128:129], v[146:147], v[128:129]
	v_fma_f64 v[146:147], s[30:31], v[42:43], v[132:133]
	v_fma_f64 v[132:133], v[40:41], s[0:1], -v[130:131]
	v_add_f64 v[132:133], v[132:133], v[140:141]
	v_mul_f64 v[140:141], v[44:45], s[18:19]
	v_fmac_f64_e32 v[130:131], s[0:1], v[40:41]
	v_add_f64 v[130:131], v[130:131], v[134:135]
	v_fma_f64 v[134:135], v[42:43], s[0:1], -v[140:141]
	v_add_f64 v[136:137], v[146:147], v[136:137]
	v_fma_f64 v[146:147], s[0:1], v[42:43], v[140:141]
	v_add_f64 v[134:135], v[134:135], v[138:139]
	v_mul_f64 v[138:139], v[46:47], s[22:23]
	v_add_f64 v[144:145], v[146:147], v[144:145]
	v_fma_f64 v[140:141], v[40:41], s[24:25], -v[138:139]
	v_mul_f64 v[146:147], v[44:45], s[22:23]
	v_fmac_f64_e32 v[138:139], s[24:25], v[40:41]
	v_add_f64 v[138:139], v[138:139], v[142:143]
	v_fma_f64 v[142:143], v[42:43], s[24:25], -v[146:147]
	v_mul_f64 v[46:47], v[46:47], s[28:29]
	v_mul_f64 v[44:45], v[44:45], s[28:29]
	v_add_f64 v[140:141], v[140:141], v[148:149]
	v_fma_f64 v[148:149], s[24:25], v[42:43], v[146:147]
	v_add_f64 v[142:143], v[142:143], v[150:151]
	v_fma_f64 v[146:147], v[40:41], s[26:27], -v[46:47]
	v_fma_f64 v[150:151], s[26:27], v[42:43], v[44:45]
	v_fmac_f64_e32 v[46:47], s[26:27], v[40:41]
	v_fma_f64 v[40:41], v[42:43], s[26:27], -v[44:45]
	v_add_f64 v[42:43], v[0:1], v[2:3]
	v_add_f64 v[0:1], v[0:1], -v[2:3]
	v_add_f64 v[4:5], v[40:41], v[4:5]
	v_add_f64 v[40:41], v[28:29], v[30:31]
	v_add_f64 v[28:29], v[28:29], -v[30:31]
	v_mul_f64 v[2:3], v[0:1], s[28:29]
	v_fma_f64 v[30:31], v[40:41], s[26:27], -v[2:3]
	v_mul_f64 v[44:45], v[28:29], s[28:29]
	v_fmac_f64_e32 v[2:3], s[26:27], v[40:41]
	v_add_f64 v[6:7], v[46:47], v[6:7]
	v_fma_f64 v[46:47], s[26:27], v[42:43], v[44:45]
	v_add_f64 v[2:3], v[2:3], v[116:117]
	v_fma_f64 v[44:45], v[42:43], s[26:27], -v[44:45]
	v_mul_f64 v[116:117], v[0:1], s[38:39]
	v_add_f64 v[44:45], v[44:45], v[118:119]
	v_fma_f64 v[118:119], v[40:41], s[14:15], -v[116:117]
	v_add_f64 v[30:31], v[30:31], v[120:121]
	v_add_f64 v[120:121], v[118:119], v[124:125]
	v_mul_f64 v[118:119], v[28:29], s[38:39]
	v_fmac_f64_e32 v[116:117], s[14:15], v[40:41]
	v_add_f64 v[46:47], v[46:47], v[128:129]
	v_add_f64 v[128:129], v[116:117], v[122:123]
	v_fma_f64 v[116:117], v[42:43], s[14:15], -v[118:119]
	v_add_f64 v[126:127], v[116:117], v[126:127]
	v_mul_f64 v[116:117], v[0:1], s[22:23]
	v_add_f64 v[152:153], v[152:153], v[164:165]
	v_fma_f64 v[124:125], s[14:15], v[42:43], v[118:119]
	v_fma_f64 v[118:119], v[40:41], s[24:25], -v[116:117]
	v_add_f64 v[146:147], v[146:147], v[152:153]
	v_add_f64 v[152:153], v[118:119], v[132:133]
	v_mul_f64 v[118:119], v[28:29], s[22:23]
	v_fmac_f64_e32 v[116:117], s[24:25], v[40:41]
	v_add_f64 v[154:155], v[154:155], v[160:161]
	v_add_f64 v[130:131], v[116:117], v[130:131]
	v_fma_f64 v[116:117], v[42:43], s[24:25], -v[118:119]
	v_add_f64 v[148:149], v[148:149], v[154:155]
	v_add_f64 v[154:155], v[116:117], v[134:135]
	v_mul_f64 v[116:117], v[0:1], s[34:35]
	v_fma_f64 v[122:123], s[24:25], v[42:43], v[118:119]
	v_fma_f64 v[118:119], v[40:41], s[30:31], -v[116:117]
	v_add_f64 v[156:157], v[156:157], v[166:167]
	v_add_f64 v[140:141], v[118:119], v[140:141]
	v_mul_f64 v[118:119], v[28:29], s[34:35]
	v_fmac_f64_e32 v[116:117], s[30:31], v[40:41]
	v_add_f64 v[150:151], v[150:151], v[156:157]
	v_add_f64 v[156:157], v[116:117], v[138:139]
	v_fma_f64 v[116:117], v[42:43], s[30:31], -v[118:119]
	v_mul_f64 v[0:1], v[0:1], s[18:19]
	v_add_f64 v[142:143], v[116:117], v[142:143]
	v_fma_f64 v[116:117], v[40:41], s[0:1], -v[0:1]
	v_mul_f64 v[28:29], v[28:29], s[18:19]
	v_fmac_f64_e32 v[0:1], s[0:1], v[40:41]
	v_add_f64 v[158:159], v[116:117], v[146:147]
	v_fma_f64 v[116:117], s[0:1], v[42:43], v[28:29]
	v_add_f64 v[0:1], v[0:1], v[6:7]
	v_fma_f64 v[6:7], v[42:43], s[0:1], -v[28:29]
	v_add_f64 v[28:29], v[12:13], v[14:15]
	v_add_f64 v[12:13], v[12:13], -v[14:15]
	v_add_f64 v[4:5], v[6:7], v[4:5]
	v_add_f64 v[6:7], v[24:25], v[26:27]
	v_mul_f64 v[14:15], v[12:13], s[34:35]
	v_add_f64 v[24:25], v[24:25], -v[26:27]
	v_fma_f64 v[26:27], v[6:7], s[30:31], -v[14:15]
	v_add_f64 v[160:161], v[116:117], v[150:151]
	v_add_f64 v[116:117], v[26:27], v[30:31]
	v_mul_f64 v[26:27], v[24:25], s[34:35]
	v_fmac_f64_e32 v[14:15], s[30:31], v[6:7]
	v_add_f64 v[132:133], v[14:15], v[2:3]
	v_fma_f64 v[2:3], v[28:29], s[30:31], -v[26:27]
	v_add_f64 v[134:135], v[2:3], v[44:45]
	v_mul_f64 v[2:3], v[12:13], s[36:37]
	v_fma_f64 v[14:15], v[6:7], s[24:25], -v[2:3]
	v_add_f64 v[120:121], v[14:15], v[120:121]
	v_mul_f64 v[14:15], v[24:25], s[36:37]
	v_fmac_f64_e32 v[2:3], s[24:25], v[6:7]
	v_add_f64 v[124:125], v[124:125], v[136:137]
	v_add_f64 v[136:137], v[2:3], v[128:129]
	v_fma_f64 v[2:3], v[28:29], s[24:25], -v[14:15]
	v_add_f64 v[138:139], v[2:3], v[126:127]
	v_mul_f64 v[2:3], v[12:13], s[28:29]
	v_add_f64 v[144:145], v[122:123], v[144:145]
	v_fma_f64 v[122:123], s[30:31], v[42:43], v[118:119]
	v_fma_f64 v[30:31], s[30:31], v[28:29], v[26:27]
	;; [unrolled: 1-line block ×3, first 2 shown]
	v_fma_f64 v[14:15], v[6:7], s[26:27], -v[2:3]
	v_add_f64 v[148:149], v[122:123], v[148:149]
	v_add_f64 v[122:123], v[26:27], v[124:125]
	;; [unrolled: 1-line block ×3, first 2 shown]
	v_mul_f64 v[14:15], v[24:25], s[28:29]
	v_fma_f64 v[26:27], s[26:27], v[28:29], v[14:15]
	v_fmac_f64_e32 v[2:3], s[26:27], v[6:7]
	v_add_f64 v[126:127], v[26:27], v[144:145]
	v_add_f64 v[144:145], v[2:3], v[130:131]
	v_fma_f64 v[2:3], v[28:29], s[26:27], -v[14:15]
	v_add_f64 v[146:147], v[2:3], v[154:155]
	v_mul_f64 v[2:3], v[12:13], s[18:19]
	v_fma_f64 v[14:15], v[6:7], s[0:1], -v[2:3]
	v_add_f64 v[128:129], v[14:15], v[140:141]
	v_mul_f64 v[14:15], v[24:25], s[18:19]
	v_fma_f64 v[26:27], s[0:1], v[28:29], v[14:15]
	v_fmac_f64_e32 v[2:3], s[0:1], v[6:7]
	v_add_f64 v[130:131], v[26:27], v[148:149]
	v_add_f64 v[148:149], v[2:3], v[156:157]
	v_fma_f64 v[2:3], v[28:29], s[0:1], -v[14:15]
	v_add_f64 v[150:151], v[2:3], v[142:143]
	v_mul_f64 v[2:3], v[12:13], s[20:21]
	v_fma_f64 v[12:13], v[6:7], s[14:15], -v[2:3]
	v_add_f64 v[140:141], v[12:13], v[158:159]
	v_mul_f64 v[12:13], v[24:25], s[20:21]
	v_fmac_f64_e32 v[2:3], s[14:15], v[6:7]
	v_fma_f64 v[14:15], s[14:15], v[28:29], v[12:13]
	v_add_f64 v[152:153], v[2:3], v[0:1]
	v_fma_f64 v[0:1], v[28:29], s[14:15], -v[12:13]
	v_add_f64 v[118:119], v[30:31], v[46:47]
	v_add_f64 v[142:143], v[14:15], v[160:161]
	;; [unrolled: 1-line block ×3, first 2 shown]
	ds_write_b128 v184, v[112:115]
	ds_write_b128 v184, v[116:119] offset:2496
	ds_write_b128 v184, v[120:123] offset:4992
	;; [unrolled: 1-line block ×10, first 2 shown]
	s_waitcnt lgkmcnt(0)
	s_barrier
	s_and_saveexec_b64 s[0:1], s[6:7]
	s_cbranch_execz .LBB0_17
; %bb.16:
	v_mov_b32_e32 v0, v185
	v_mov_b32_e32 v185, 0
	v_lshl_add_u64 v[156:157], s[16:17], 0, v[184:185]
	v_add_co_u32_e32 v6, vcc, 0x6000, v156
	v_mov_b32_e32 v185, v0
	s_nop 0
	v_addc_co_u32_e32 v7, vcc, 0, v157, vcc
	global_load_dwordx4 v[12:15], v[6:7], off offset:2880
	ds_read_b128 v[0:3], v184
	s_mov_b64 s[14:15], 0x6b40
	v_lshl_add_u64 v[4:5], v[156:157], 0, s[14:15]
	s_movk_i32 s14, 0x7000
	s_waitcnt vmcnt(0) lgkmcnt(0)
	v_mul_f64 v[6:7], v[2:3], v[14:15]
	v_mul_f64 v[26:27], v[0:1], v[14:15]
	v_fma_f64 v[24:25], v[0:1], v[12:13], -v[6:7]
	v_fmac_f64_e32 v[26:27], v[2:3], v[12:13]
	global_load_dwordx4 v[12:15], v[4:5], off offset:2112
	ds_read_b128 v[0:3], v184 offset:2112
	ds_write_b128 v184, v[24:27]
	s_waitcnt vmcnt(0) lgkmcnt(1)
	v_mul_f64 v[4:5], v[2:3], v[14:15]
	v_fma_f64 v[24:25], v[0:1], v[12:13], -v[4:5]
	v_add_co_u32_e32 v4, vcc, s14, v156
	v_mul_f64 v[26:27], v[0:1], v[14:15]
	s_nop 0
	v_addc_co_u32_e32 v5, vcc, 0, v157, vcc
	v_fmac_f64_e32 v[26:27], v[2:3], v[12:13]
	global_load_dwordx4 v[12:15], v[4:5], off offset:3008
	ds_read_b128 v[0:3], v184 offset:4224
	s_mov_b32 s14, 0x8000
	ds_write_b128 v184, v[24:27] offset:2112
	s_waitcnt vmcnt(0) lgkmcnt(1)
	v_mul_f64 v[4:5], v[2:3], v[14:15]
	v_fma_f64 v[24:25], v[0:1], v[12:13], -v[4:5]
	v_add_co_u32_e32 v4, vcc, s14, v156
	v_mul_f64 v[26:27], v[0:1], v[14:15]
	s_nop 0
	v_addc_co_u32_e32 v5, vcc, 0, v157, vcc
	v_fmac_f64_e32 v[26:27], v[2:3], v[12:13]
	global_load_dwordx4 v[12:15], v[4:5], off offset:1024
	ds_read_b128 v[0:3], v184 offset:6336
	ds_write_b128 v184, v[24:27] offset:4224
	s_mov_b32 s14, 0x9000
	s_waitcnt vmcnt(0) lgkmcnt(1)
	v_mul_f64 v[6:7], v[2:3], v[14:15]
	v_mul_f64 v[26:27], v[0:1], v[14:15]
	v_fma_f64 v[24:25], v[0:1], v[12:13], -v[6:7]
	v_fmac_f64_e32 v[26:27], v[2:3], v[12:13]
	global_load_dwordx4 v[12:15], v[4:5], off offset:3136
	ds_read_b128 v[0:3], v184 offset:8448
	ds_write_b128 v184, v[24:27] offset:6336
	s_waitcnt vmcnt(0) lgkmcnt(1)
	v_mul_f64 v[4:5], v[2:3], v[14:15]
	v_fma_f64 v[24:25], v[0:1], v[12:13], -v[4:5]
	v_add_co_u32_e32 v4, vcc, s14, v156
	v_mul_f64 v[26:27], v[0:1], v[14:15]
	s_nop 0
	v_addc_co_u32_e32 v5, vcc, 0, v157, vcc
	v_fmac_f64_e32 v[26:27], v[2:3], v[12:13]
	global_load_dwordx4 v[12:15], v[4:5], off offset:1152
	ds_read_b128 v[0:3], v184 offset:10560
	ds_write_b128 v184, v[24:27] offset:8448
	s_mov_b32 s14, 0xa000
	s_waitcnt vmcnt(0) lgkmcnt(1)
	v_mul_f64 v[6:7], v[2:3], v[14:15]
	v_mul_f64 v[26:27], v[0:1], v[14:15]
	v_fma_f64 v[24:25], v[0:1], v[12:13], -v[6:7]
	v_fmac_f64_e32 v[26:27], v[2:3], v[12:13]
	global_load_dwordx4 v[12:15], v[4:5], off offset:3264
	ds_read_b128 v[0:3], v184 offset:12672
	;; [unrolled: 20-line block ×4, first 2 shown]
	ds_write_b128 v184, v[24:27] offset:19008
	s_waitcnt vmcnt(0) lgkmcnt(1)
	v_mul_f64 v[4:5], v[2:3], v[14:15]
	v_fma_f64 v[24:25], v[0:1], v[12:13], -v[4:5]
	v_add_co_u32_e32 v4, vcc, s14, v156
	v_mul_f64 v[26:27], v[0:1], v[14:15]
	s_nop 0
	v_addc_co_u32_e32 v5, vcc, 0, v157, vcc
	v_fmac_f64_e32 v[26:27], v[2:3], v[12:13]
	global_load_dwordx4 v[12:15], v[4:5], off offset:1536
	ds_read_b128 v[0:3], v184 offset:23232
	ds_read_b128 v[156:159], v184 offset:25344
	ds_write_b128 v184, v[24:27] offset:21120
	s_waitcnt vmcnt(0) lgkmcnt(2)
	v_mul_f64 v[6:7], v[2:3], v[14:15]
	v_mul_f64 v[26:27], v[0:1], v[14:15]
	v_fma_f64 v[24:25], v[0:1], v[12:13], -v[6:7]
	v_fmac_f64_e32 v[26:27], v[2:3], v[12:13]
	global_load_dwordx4 v[0:3], v[4:5], off offset:3648
	ds_write_b128 v184, v[24:27] offset:23232
	s_waitcnt vmcnt(0) lgkmcnt(2)
	v_mul_f64 v[4:5], v[158:159], v[2:3]
	v_mul_f64 v[14:15], v[156:157], v[2:3]
	v_fma_f64 v[12:13], v[156:157], v[0:1], -v[4:5]
	v_fmac_f64_e32 v[14:15], v[158:159], v[0:1]
	ds_write_b128 v184, v[12:15] offset:25344
.LBB0_17:
	s_or_b64 exec, exec, s[0:1]
	s_waitcnt lgkmcnt(0)
	s_barrier
	s_and_saveexec_b64 s[0:1], s[6:7]
	s_cbranch_execz .LBB0_19
; %bb.18:
	ds_read_b128 v[112:115], v184
	ds_read_b128 v[116:119], v184 offset:2112
	ds_read_b128 v[120:123], v184 offset:4224
	;; [unrolled: 1-line block ×12, first 2 shown]
.LBB0_19:
	s_or_b64 exec, exec, s[0:1]
	s_mov_b32 s18, 0x42a4c3d2
	s_waitcnt lgkmcnt(0)
	v_add_f64 v[194:195], v[118:119], -v[250:251]
	s_mov_b32 s0, 0x1ea71119
	s_mov_b32 s19, 0xbfea55e2
	;; [unrolled: 1-line block ×3, first 2 shown]
	v_add_f64 v[190:191], v[116:117], v[248:249]
	v_add_f64 v[192:193], v[118:119], v[250:251]
	s_mov_b32 s1, 0x3fe22d96
	v_mul_f64 v[8:9], v[194:195], s[18:19]
	s_mov_b32 s24, 0x66966769
	v_add_f64 v[202:203], v[122:123], -v[110:111]
	s_mov_b32 s20, 0xb2365da1
	s_mov_b32 s29, 0xbfedeba7
	v_add_f64 v[198:199], v[116:117], -v[248:249]
	v_mul_f64 v[214:215], v[192:193], s[0:1]
	v_fma_f64 v[0:1], v[190:191], s[0:1], -v[8:9]
	s_mov_b32 s14, 0xebaa3ed8
	s_mov_b32 s25, 0xbfefc445
	v_add_f64 v[196:197], v[120:121], v[108:109]
	v_add_f64 v[200:201], v[122:123], v[110:111]
	s_mov_b32 s21, 0xbfd6b1d8
	v_mul_f64 v[220:221], v[202:203], s[28:29]
	s_mov_b32 s30, 0x4bc48dbf
	v_add_f64 v[0:1], v[112:113], v[0:1]
	v_fma_f64 v[2:3], s[18:19], v[198:199], v[214:215]
	s_mov_b32 s15, 0x3fbedb7d
	v_mul_f64 v[224:225], v[194:195], s[24:25]
	v_add_f64 v[212:213], v[120:121], -v[108:109]
	v_mul_f64 v[230:231], v[200:201], s[20:21]
	v_fma_f64 v[12:13], v[196:197], s[20:21], -v[220:221]
	s_mov_b32 s26, 0x93053d00
	s_mov_b32 s31, 0xbfcea1e5
	v_add_f64 v[2:3], v[114:115], v[2:3]
	v_mul_f64 v[232:233], v[192:193], s[14:15]
	v_fma_f64 v[4:5], v[190:191], s[14:15], -v[224:225]
	v_add_f64 v[0:1], v[12:13], v[0:1]
	v_fma_f64 v[12:13], s[28:29], v[212:213], v[230:231]
	s_mov_b32 s27, 0xbfef11f4
	v_mul_f64 v[246:247], v[202:203], s[30:31]
	v_add_f64 v[4:5], v[112:113], v[4:5]
	v_fma_f64 v[6:7], s[24:25], v[198:199], v[232:233]
	v_add_f64 v[2:3], v[12:13], v[2:3]
	v_mul_f64 v[252:253], v[200:201], s[26:27]
	v_fma_f64 v[12:13], v[196:197], s[26:27], -v[246:247]
	v_add_f64 v[216:217], v[126:127], -v[134:135]
	v_add_f64 v[6:7], v[114:115], v[6:7]
	v_add_f64 v[4:5], v[12:13], v[4:5]
	v_fma_f64 v[12:13], s[30:31], v[212:213], v[252:253]
	v_add_f64 v[204:205], v[124:125], v[132:133]
	v_add_f64 v[208:209], v[126:127], v[134:135]
	v_mul_f64 v[236:237], v[216:217], s[30:31]
	v_add_f64 v[6:7], v[12:13], v[6:7]
	v_add_f64 v[228:229], v[124:125], -v[132:133]
	v_mul_f64 v[242:243], v[208:209], s[26:27]
	v_fma_f64 v[12:13], v[204:205], s[26:27], -v[236:237]
	s_mov_b32 s47, 0x3fedeba7
	s_mov_b32 s46, s28
	v_add_f64 v[0:1], v[12:13], v[0:1]
	v_fma_f64 v[12:13], s[30:31], v[228:229], v[242:243]
	v_mul_f64 v[254:255], v[216:217], s[46:47]
	s_mov_b32 s42, 0x24c2f84
	v_add_f64 v[2:3], v[12:13], v[2:3]
	v_mul_f64 v[14:15], v[208:209], s[20:21]
	v_fma_f64 v[12:13], v[204:205], s[20:21], -v[254:255]
	v_add_f64 v[226:227], v[130:131], -v[138:139]
	s_mov_b32 s34, 0xd0032e0c
	s_mov_b32 s43, 0x3fe5384d
	v_mov_b64_e32 v[50:51], v[248:249]
	v_add_f64 v[4:5], v[12:13], v[4:5]
	v_fma_f64 v[12:13], s[46:47], v[228:229], v[14:15]
	v_add_f64 v[210:211], v[128:129], v[136:137]
	v_add_f64 v[218:219], v[130:131], v[138:139]
	s_mov_b32 s35, 0xbfe7f3cc
	v_mov_b64_e32 v[52:53], v[250:251]
	v_mul_f64 v[250:251], v[226:227], s[42:43]
	v_add_f64 v[6:7], v[12:13], v[6:7]
	v_add_f64 v[240:241], v[128:129], -v[136:137]
	v_mul_f64 v[12:13], v[218:219], s[34:35]
	v_fma_f64 v[24:25], v[210:211], s[34:35], -v[250:251]
	s_mov_b32 s36, 0xe00740e9
	s_mov_b32 s39, 0x3fddbe06
	;; [unrolled: 1-line block ×3, first 2 shown]
	v_add_f64 v[0:1], v[24:25], v[0:1]
	v_fma_f64 v[24:25], s[42:43], v[240:241], v[12:13]
	s_mov_b32 s37, 0x3fec55a7
	v_mul_f64 v[28:29], v[226:227], s[38:39]
	v_add_f64 v[2:3], v[24:25], v[2:3]
	v_mul_f64 v[42:43], v[218:219], s[36:37]
	v_fma_f64 v[24:25], v[210:211], s[36:37], -v[28:29]
	v_add_f64 v[4:5], v[24:25], v[4:5]
	v_fma_f64 v[24:25], s[38:39], v[240:241], v[42:43]
	v_add_f64 v[248:249], v[142:143], -v[146:147]
	s_mov_b32 s45, 0x3fefc445
	s_mov_b32 s44, s24
	v_add_f64 v[6:7], v[24:25], v[6:7]
	v_add_f64 v[222:223], v[140:141], v[144:145]
	v_add_f64 v[234:235], v[142:143], v[146:147]
	v_mul_f64 v[24:25], v[248:249], s[44:45]
	v_add_f64 v[186:187], v[140:141], -v[144:145]
	v_mul_f64 v[30:31], v[234:235], s[14:15]
	v_fma_f64 v[26:27], v[222:223], s[14:15], -v[24:25]
	v_add_f64 v[156:157], v[26:27], v[0:1]
	v_fma_f64 v[0:1], s[44:45], v[186:187], v[30:31]
	v_mul_f64 v[46:47], v[248:249], s[18:19]
	v_add_f64 v[2:3], v[0:1], v[2:3]
	v_mul_f64 v[0:1], v[234:235], s[0:1]
	v_fma_f64 v[26:27], v[222:223], s[0:1], -v[46:47]
	v_add_f64 v[188:189], v[154:155], -v[150:151]
	v_add_f64 v[4:5], v[26:27], v[4:5]
	v_fma_f64 v[26:27], s[18:19], v[186:187], v[0:1]
	v_add_f64 v[238:239], v[152:153], v[148:149]
	v_add_f64 v[244:245], v[154:155], v[150:151]
	v_mul_f64 v[40:41], v[188:189], s[38:39]
	v_add_f64 v[6:7], v[26:27], v[6:7]
	v_add_f64 v[26:27], v[152:153], -v[148:149]
	v_mul_f64 v[44:45], v[244:245], s[36:37]
	v_fma_f64 v[158:159], v[238:239], s[36:37], -v[40:41]
	v_add_f64 v[160:161], v[158:159], v[156:157]
	v_fma_f64 v[156:157], s[38:39], v[26:27], v[44:45]
	s_mov_b32 s41, 0xbfe5384d
	s_mov_b32 s40, s42
	v_add_f64 v[162:163], v[156:157], v[2:3]
	v_mul_f64 v[2:3], v[188:189], s[40:41]
	v_mul_f64 v[164:165], v[244:245], s[34:35]
	v_fma_f64 v[156:157], v[238:239], s[34:35], -v[2:3]
	v_add_f64 v[156:157], v[156:157], v[4:5]
	v_fma_f64 v[4:5], s[40:41], v[26:27], v[164:165]
	v_add_f64 v[158:159], v[4:5], v[6:7]
	s_barrier
	s_and_saveexec_b64 s[22:23], s[6:7]
	s_cbranch_execz .LBB0_21
; %bb.20:
	v_mul_f64 v[4:5], v[190:191], s[0:1]
	v_accvgpr_write_b32 a67, v5
	v_accvgpr_write_b32 a66, v4
	v_mul_f64 v[4:5], v[198:199], s[18:19]
	v_accvgpr_write_b32 a73, v5
	v_accvgpr_write_b32 a72, v4
	;; [unrolled: 3-line block ×18, first 2 shown]
	v_accvgpr_write_b32 a16, v180
	v_accvgpr_write_b32 a90, v8
	v_mul_f64 v[8:9], v[198:199], s[30:31]
	v_accvgpr_write_b32 a88, v4
	v_mul_f64 v[4:5], v[222:223], s[0:1]
	v_accvgpr_write_b32 a12, v174
	v_accvgpr_write_b32 a17, v181
	;; [unrolled: 1-line block ×4, first 2 shown]
	v_mul_f64 v[180:181], v[212:213], s[38:39]
	v_fma_f64 v[10:11], s[26:27], v[192:193], v[8:9]
	v_accvgpr_write_b32 a4, v32
	v_accvgpr_write_b32 a101, v5
	s_mov_b32 s47, 0x3fea55e2
	s_mov_b32 s46, s18
	v_accvgpr_write_b32 a13, v175
	v_accvgpr_write_b32 a14, v176
	;; [unrolled: 1-line block ×3, first 2 shown]
	v_mul_f64 v[176:177], v[228:229], s[40:41]
	v_fma_f64 v[182:183], s[36:37], v[200:201], v[180:181]
	v_add_f64 v[10:11], v[114:115], v[10:11]
	v_accvgpr_write_b32 a5, v33
	v_accvgpr_write_b32 a6, v34
	;; [unrolled: 1-line block ×3, first 2 shown]
	v_mul_f64 v[32:33], v[194:195], s[30:31]
	v_accvgpr_write_b32 a100, v4
	v_mul_f64 v[4:5], v[186:187], s[18:19]
	v_accvgpr_write_b32 a65, v59
	v_accvgpr_write_b32 a3, v172
	;; [unrolled: 1-line block ×3, first 2 shown]
	v_mul_f64 v[172:173], v[240:241], s[46:47]
	v_accvgpr_write_b32 a0, v178
	v_accvgpr_write_b32 a49, v179
	v_fma_f64 v[178:179], s[34:35], v[208:209], v[176:177]
	v_add_f64 v[10:11], v[182:183], v[10:11]
	v_mul_f64 v[20:21], v[202:203], s[38:39]
	v_fma_f64 v[34:35], v[190:191], s[26:27], -v[32:33]
	v_accvgpr_write_b32 a107, v5
	v_accvgpr_write_b32 a64, v58
	;; [unrolled: 1-line block ×4, first 2 shown]
	v_mov_b32_e32 v59, v168
	v_accvgpr_write_b32 a1, v169
	v_mul_f64 v[168:169], v[186:187], s[28:29]
	v_fma_f64 v[174:175], s[0:1], v[218:219], v[172:173]
	v_add_f64 v[10:11], v[178:179], v[10:11]
	v_mul_f64 v[16:17], v[216:217], s[40:41]
	v_fma_f64 v[22:23], v[196:197], s[36:37], -v[20:21]
	v_add_f64 v[34:35], v[112:113], v[34:35]
	v_accvgpr_write_b32 a106, v4
	v_mul_f64 v[4:5], v[26:27], s[44:45]
	v_mov_b32_e32 v58, v170
	v_accvgpr_write_b32 a2, v171
	v_fma_f64 v[170:171], s[20:21], v[234:235], v[168:169]
	v_add_f64 v[10:11], v[174:175], v[10:11]
	v_mul_f64 v[178:179], v[226:227], s[46:47]
	v_fma_f64 v[18:19], v[204:205], s[34:35], -v[16:17]
	v_add_f64 v[22:23], v[22:23], v[34:35]
	v_fma_f64 v[6:7], s[14:15], v[244:245], v[4:5]
	v_add_f64 v[10:11], v[170:171], v[10:11]
	v_mul_f64 v[174:175], v[248:249], s[28:29]
	v_fma_f64 v[182:183], v[210:211], s[0:1], -v[178:179]
	v_add_f64 v[18:19], v[18:19], v[22:23]
	v_fma_f64 v[8:9], v[192:193], s[26:27], -v[8:9]
	v_add_f64 v[56:57], v[6:7], v[10:11]
	v_mul_f64 v[6:7], v[188:189], s[44:45]
	v_fma_f64 v[170:171], v[222:223], s[20:21], -v[174:175]
	v_add_f64 v[18:19], v[182:183], v[18:19]
	v_fma_f64 v[34:35], v[200:201], s[36:37], -v[180:181]
	v_add_f64 v[8:9], v[114:115], v[8:9]
	;; [unrolled: 2-line block ×4, first 2 shown]
	v_add_f64 v[54:55], v[10:11], v[18:19]
	v_fma_f64 v[18:19], v[218:219], s[0:1], -v[172:173]
	v_add_f64 v[8:9], v[22:23], v[8:9]
	v_fma_f64 v[10:11], v[234:235], s[20:21], -v[168:169]
	;; [unrolled: 2-line block ×3, first 2 shown]
	v_add_f64 v[8:9], v[10:11], v[8:9]
	v_fmac_f64_e32 v[32:33], s[26:27], v[190:191]
	v_add_f64 v[170:171], v[4:5], v[8:9]
	v_fmac_f64_e32 v[20:21], s[36:37], v[196:197]
	v_add_f64 v[4:5], v[112:113], v[32:33]
	v_mul_f64 v[176:177], v[198:199], s[40:41]
	v_fmac_f64_e32 v[16:17], s[34:35], v[204:205]
	v_add_f64 v[4:5], v[20:21], v[4:5]
	v_mul_f64 v[32:33], v[212:213], s[44:45]
	v_fma_f64 v[172:173], s[34:35], v[192:193], v[176:177]
	v_accvgpr_write_b32 a8, v36
	v_fmac_f64_e32 v[178:179], s[0:1], v[210:211]
	v_add_f64 v[4:5], v[16:17], v[4:5]
	s_mov_b32 s49, 0x3fcea1e5
	s_mov_b32 s48, s30
	v_mul_f64 v[20:21], v[228:229], s[18:19]
	v_fma_f64 v[34:35], s[14:15], v[200:201], v[32:33]
	v_add_f64 v[172:173], v[114:115], v[172:173]
	v_accvgpr_write_b32 a9, v37
	v_accvgpr_write_b32 a10, v38
	;; [unrolled: 1-line block ×3, first 2 shown]
	v_mul_f64 v[38:39], v[194:195], s[40:41]
	v_fmac_f64_e32 v[174:175], s[20:21], v[222:223]
	v_add_f64 v[4:5], v[178:179], v[4:5]
	v_mul_f64 v[16:17], v[240:241], s[48:49]
	v_fma_f64 v[22:23], s[0:1], v[208:209], v[20:21]
	v_add_f64 v[34:35], v[34:35], v[172:173]
	v_mul_f64 v[182:183], v[202:203], s[44:45]
	v_fma_f64 v[166:167], v[190:191], s[34:35], -v[38:39]
	v_fmac_f64_e32 v[6:7], s[14:15], v[238:239]
	v_add_f64 v[4:5], v[174:175], v[4:5]
	v_mul_f64 v[8:9], v[186:187], s[38:39]
	v_fma_f64 v[18:19], s[26:27], v[218:219], v[16:17]
	v_add_f64 v[22:23], v[22:23], v[34:35]
	v_mul_f64 v[180:181], v[216:217], s[18:19]
	v_fma_f64 v[36:37], v[196:197], s[14:15], -v[182:183]
	v_add_f64 v[166:167], v[112:113], v[166:167]
	v_add_f64 v[168:169], v[6:7], v[4:5]
	v_mul_f64 v[4:5], v[26:27], s[28:29]
	v_fma_f64 v[10:11], s[36:37], v[234:235], v[8:9]
	v_add_f64 v[18:19], v[18:19], v[22:23]
	v_mul_f64 v[34:35], v[226:227], s[48:49]
	v_fma_f64 v[178:179], v[204:205], s[0:1], -v[180:181]
	v_add_f64 v[36:37], v[36:37], v[166:167]
	v_fma_f64 v[6:7], s[20:21], v[244:245], v[4:5]
	v_add_f64 v[10:11], v[10:11], v[18:19]
	v_mul_f64 v[18:19], v[248:249], s[38:39]
	v_fma_f64 v[172:173], v[210:211], s[26:27], -v[34:35]
	v_add_f64 v[36:37], v[178:179], v[36:37]
	v_add_f64 v[174:175], v[6:7], v[10:11]
	v_mul_f64 v[6:7], v[188:189], s[28:29]
	v_fma_f64 v[22:23], v[222:223], s[36:37], -v[18:19]
	v_add_f64 v[36:37], v[172:173], v[36:37]
	v_fma_f64 v[10:11], v[238:239], s[20:21], -v[6:7]
	v_add_f64 v[22:23], v[22:23], v[36:37]
	v_add_f64 v[172:173], v[10:11], v[22:23]
	v_fma_f64 v[22:23], v[192:193], s[34:35], -v[176:177]
	v_fma_f64 v[10:11], v[218:219], s[26:27], -v[16:17]
	;; [unrolled: 1-line block ×4, first 2 shown]
	v_add_f64 v[22:23], v[114:115], v[22:23]
	v_add_f64 v[20:21], v[20:21], v[22:23]
	v_add_f64 v[16:17], v[16:17], v[20:21]
	v_fma_f64 v[8:9], v[234:235], s[36:37], -v[8:9]
	v_add_f64 v[10:11], v[10:11], v[16:17]
	v_fma_f64 v[4:5], v[244:245], s[20:21], -v[4:5]
	v_add_f64 v[8:9], v[8:9], v[10:11]
	v_fmac_f64_e32 v[38:39], s[34:35], v[190:191]
	v_add_f64 v[178:179], v[4:5], v[8:9]
	v_fmac_f64_e32 v[182:183], s[14:15], v[196:197]
	;; [unrolled: 2-line block ×3, first 2 shown]
	v_add_f64 v[4:5], v[182:183], v[4:5]
	v_mul_f64 v[36:37], v[198:199], s[28:29]
	v_fmac_f64_e32 v[34:35], s[26:27], v[210:211]
	v_add_f64 v[4:5], v[180:181], v[4:5]
	v_mul_f64 v[32:33], v[212:213], s[42:43]
	v_fma_f64 v[38:39], s[20:21], v[192:193], v[36:37]
	v_add_f64 v[4:5], v[34:35], v[4:5]
	v_mul_f64 v[20:21], v[228:229], s[38:39]
	v_fma_f64 v[34:35], s[34:35], v[200:201], v[32:33]
	v_add_f64 v[38:39], v[114:115], v[38:39]
	v_fmac_f64_e32 v[18:19], s[36:37], v[222:223]
	v_mul_f64 v[16:17], v[240:241], s[24:25]
	v_fma_f64 v[22:23], s[36:37], v[208:209], v[20:21]
	v_add_f64 v[34:35], v[34:35], v[38:39]
	v_fmac_f64_e32 v[6:7], s[20:21], v[238:239]
	v_add_f64 v[4:5], v[18:19], v[4:5]
	v_mul_f64 v[8:9], v[186:187], s[48:49]
	v_fma_f64 v[18:19], s[14:15], v[218:219], v[16:17]
	v_add_f64 v[22:23], v[22:23], v[34:35]
	v_add_f64 v[176:177], v[6:7], v[4:5]
	v_mul_f64 v[4:5], v[26:27], s[46:47]
	v_fma_f64 v[10:11], s[26:27], v[234:235], v[8:9]
	v_add_f64 v[18:19], v[18:19], v[22:23]
	v_mul_f64 v[166:167], v[194:195], s[28:29]
	v_fma_f64 v[6:7], s[0:1], v[244:245], v[4:5]
	v_add_f64 v[10:11], v[10:11], v[18:19]
	v_mul_f64 v[38:39], v[202:203], s[42:43]
	v_fma_f64 v[180:181], v[190:191], s[20:21], -v[166:167]
	v_add_f64 v[182:183], v[6:7], v[10:11]
	v_mul_f64 v[34:35], v[216:217], s[38:39]
	v_fma_f64 v[6:7], v[196:197], s[34:35], -v[38:39]
	v_add_f64 v[180:181], v[112:113], v[180:181]
	v_mul_f64 v[22:23], v[226:227], s[24:25]
	v_add_f64 v[6:7], v[6:7], v[180:181]
	v_fma_f64 v[180:181], v[204:205], s[36:37], -v[34:35]
	v_mul_f64 v[18:19], v[248:249], s[48:49]
	v_add_f64 v[6:7], v[180:181], v[6:7]
	v_fma_f64 v[180:181], v[210:211], s[14:15], -v[22:23]
	;; [unrolled: 3-line block ×3, first 2 shown]
	v_add_f64 v[6:7], v[180:181], v[6:7]
	v_fma_f64 v[180:181], v[238:239], s[0:1], -v[10:11]
	v_add_f64 v[180:181], v[180:181], v[6:7]
	v_fma_f64 v[6:7], v[200:201], s[34:35], -v[32:33]
	v_fma_f64 v[32:33], v[192:193], s[20:21], -v[36:37]
	v_add_f64 v[32:33], v[114:115], v[32:33]
	v_add_f64 v[6:7], v[6:7], v[32:33]
	v_fma_f64 v[20:21], v[208:209], s[36:37], -v[20:21]
	v_add_f64 v[6:7], v[20:21], v[6:7]
	v_fma_f64 v[16:17], v[218:219], s[14:15], -v[16:17]
	v_fma_f64 v[8:9], v[234:235], s[26:27], -v[8:9]
	v_add_f64 v[6:7], v[16:17], v[6:7]
	v_fma_f64 v[4:5], v[244:245], s[0:1], -v[4:5]
	v_add_f64 v[6:7], v[8:9], v[6:7]
	v_fmac_f64_e32 v[166:167], s[20:21], v[190:191]
	v_add_f64 v[6:7], v[4:5], v[6:7]
	v_fmac_f64_e32 v[38:39], s[34:35], v[196:197]
	;; [unrolled: 2-line block ×5, first 2 shown]
	v_add_f64 v[4:5], v[22:23], v[4:5]
	v_accvgpr_read_b32 v16, a102
	v_fmac_f64_e32 v[10:11], s[0:1], v[238:239]
	v_add_f64 v[4:5], v[18:19], v[4:5]
	v_accvgpr_read_b32 v17, a103
	v_accvgpr_read_b32 v18, a94
	v_add_f64 v[4:5], v[10:11], v[4:5]
	v_accvgpr_read_b32 v10, a106
	v_add_f64 v[14:15], v[14:15], -v[16:17]
	v_accvgpr_read_b32 v16, a98
	v_accvgpr_read_b32 v19, a95
	;; [unrolled: 1-line block ×4, first 2 shown]
	v_add_f64 v[18:19], v[232:233], -v[18:19]
	v_add_f64 v[0:1], v[0:1], -v[10:11]
	v_accvgpr_read_b32 v10, a104
	v_add_f64 v[16:17], v[252:253], -v[16:17]
	v_add_f64 v[18:19], v[114:115], v[18:19]
	v_accvgpr_read_b32 v11, a105
	v_add_f64 v[16:17], v[16:17], v[18:19]
	v_add_f64 v[10:11], v[42:43], -v[10:11]
	v_add_f64 v[14:15], v[14:15], v[16:17]
	v_accvgpr_read_b32 v16, a82
	v_mul_f64 v[20:21], v[26:27], s[40:41]
	v_add_f64 v[10:11], v[10:11], v[14:15]
	v_accvgpr_read_b32 v14, a86
	v_accvgpr_read_b32 v17, a83
	v_add_f64 v[8:9], v[164:165], -v[20:21]
	v_add_f64 v[0:1], v[0:1], v[10:11]
	v_accvgpr_read_b32 v10, a92
	v_accvgpr_read_b32 v15, a87
	v_add_f64 v[16:17], v[16:17], v[224:225]
	v_mul_f64 v[32:33], v[238:239], s[34:35]
	v_add_f64 v[166:167], v[8:9], v[0:1]
	v_accvgpr_read_b32 v8, a96
	v_accvgpr_read_b32 v11, a93
	v_add_f64 v[14:15], v[14:15], v[246:247]
	v_add_f64 v[16:17], v[112:113], v[16:17]
	v_add_f64 v[0:1], v[32:33], v[2:3]
	v_accvgpr_read_b32 v2, a100
	v_accvgpr_read_b32 v9, a97
	v_add_f64 v[10:11], v[10:11], v[254:255]
	v_add_f64 v[14:15], v[14:15], v[16:17]
	v_accvgpr_read_b32 v3, a101
	v_add_f64 v[8:9], v[8:9], v[28:29]
	v_add_f64 v[10:11], v[10:11], v[14:15]
	;; [unrolled: 1-line block ×5, first 2 shown]
	v_accvgpr_read_b32 v8, a84
	v_accvgpr_read_b32 v9, a85
	;; [unrolled: 1-line block ×3, first 2 shown]
	v_add_f64 v[8:9], v[12:13], -v[8:9]
	v_accvgpr_read_b32 v12, a76
	v_accvgpr_read_b32 v15, a73
	;; [unrolled: 1-line block ×4, first 2 shown]
	v_add_f64 v[14:15], v[214:215], -v[14:15]
	v_accvgpr_read_b32 v11, a81
	v_add_f64 v[12:13], v[230:231], -v[12:13]
	v_add_f64 v[14:15], v[114:115], v[14:15]
	v_accvgpr_read_b32 v16, a66
	v_accvgpr_read_b32 v18, a90
	v_add_f64 v[164:165], v[0:1], v[2:3]
	v_accvgpr_read_b32 v2, a88
	v_add_f64 v[10:11], v[242:243], -v[10:11]
	v_add_f64 v[12:13], v[12:13], v[14:15]
	v_accvgpr_read_b32 v14, a68
	v_accvgpr_read_b32 v17, a67
	;; [unrolled: 1-line block ×4, first 2 shown]
	v_add_f64 v[10:11], v[10:11], v[12:13]
	v_accvgpr_read_b32 v12, a70
	v_accvgpr_read_b32 v15, a69
	v_add_f64 v[16:17], v[16:17], v[18:19]
	v_add_f64 v[2:3], v[30:31], -v[2:3]
	v_add_f64 v[8:9], v[8:9], v[10:11]
	v_accvgpr_read_b32 v10, a74
	v_accvgpr_read_b32 v13, a71
	v_add_f64 v[14:15], v[14:15], v[220:221]
	v_add_f64 v[16:17], v[112:113], v[16:17]
	;; [unrolled: 1-line block ×3, first 2 shown]
	v_accvgpr_read_b32 v8, a78
	v_accvgpr_read_b32 v11, a75
	v_add_f64 v[12:13], v[12:13], v[236:237]
	v_add_f64 v[14:15], v[14:15], v[16:17]
	v_mul_f64 v[48:49], v[26:27], s[38:39]
	v_accvgpr_read_b32 v9, a79
	v_add_f64 v[10:11], v[10:11], v[250:251]
	v_add_f64 v[12:13], v[12:13], v[14:15]
	s_mov_b32 s39, 0xbfddbe06
	v_accvgpr_write_b32 a50, v206
	v_accvgpr_write_b32 a51, v207
	v_mul_f64 v[206:207], v[238:239], s[36:37]
	v_add_f64 v[0:1], v[44:45], -v[48:49]
	v_add_f64 v[8:9], v[8:9], v[24:25]
	v_add_f64 v[10:11], v[10:11], v[12:13]
	v_mul_f64 v[28:29], v[198:199], s[38:39]
	v_add_f64 v[2:3], v[0:1], v[2:3]
	v_add_f64 v[0:1], v[206:207], v[40:41]
	;; [unrolled: 1-line block ×3, first 2 shown]
	v_mul_f64 v[24:25], v[212:213], s[18:19]
	v_fma_f64 v[30:31], s[36:37], v[192:193], v[28:29]
	v_add_f64 v[0:1], v[0:1], v[8:9]
	v_mul_f64 v[8:9], v[26:27], s[30:31]
	v_mul_f64 v[20:21], v[228:229], s[24:25]
	v_fma_f64 v[26:27], s[0:1], v[200:201], v[24:25]
	v_add_f64 v[30:31], v[114:115], v[30:31]
	v_mul_f64 v[42:43], v[194:195], s[38:39]
	;; [unrolled: 4-line block ×3, first 2 shown]
	v_fma_f64 v[44:45], v[190:191], s[36:37], -v[42:43]
	v_mul_f64 v[16:17], v[186:187], s[40:41]
	v_fma_f64 v[14:15], s[20:21], v[218:219], v[18:19]
	v_add_f64 v[22:23], v[22:23], v[26:27]
	v_mul_f64 v[34:35], v[216:217], s[24:25]
	v_fma_f64 v[40:41], v[196:197], s[0:1], -v[38:39]
	v_add_f64 v[44:45], v[112:113], v[44:45]
	v_fma_f64 v[12:13], s[34:35], v[234:235], v[16:17]
	v_add_f64 v[14:15], v[14:15], v[22:23]
	v_mul_f64 v[30:31], v[226:227], s[28:29]
	v_fma_f64 v[36:37], v[204:205], s[14:15], -v[34:35]
	v_add_f64 v[40:41], v[40:41], v[44:45]
	;; [unrolled: 5-line block ×3, first 2 shown]
	v_add_f64 v[14:15], v[10:11], v[12:13]
	v_mul_f64 v[10:11], v[188:189], s[30:31]
	v_fma_f64 v[26:27], v[222:223], s[34:35], -v[22:23]
	v_add_f64 v[32:33], v[32:33], v[36:37]
	v_fma_f64 v[12:13], v[238:239], s[26:27], -v[10:11]
	v_add_f64 v[26:27], v[26:27], v[32:33]
	v_add_f64 v[12:13], v[12:13], v[26:27]
	v_fma_f64 v[26:27], v[192:193], s[36:37], -v[28:29]
	v_fma_f64 v[24:25], v[200:201], s[0:1], -v[24:25]
	v_add_f64 v[26:27], v[114:115], v[26:27]
	v_fma_f64 v[20:21], v[208:209], s[14:15], -v[20:21]
	v_add_f64 v[24:25], v[24:25], v[26:27]
	;; [unrolled: 2-line block ×5, first 2 shown]
	v_fmac_f64_e32 v[42:43], s[36:37], v[190:191]
	v_add_f64 v[26:27], v[8:9], v[16:17]
	v_fmac_f64_e32 v[38:39], s[0:1], v[196:197]
	v_add_f64 v[8:9], v[112:113], v[42:43]
	;; [unrolled: 2-line block ×6, first 2 shown]
	v_add_f64 v[24:25], v[10:11], v[8:9]
	v_add_f64 v[8:9], v[114:115], v[118:119]
	;; [unrolled: 1-line block ×25, first 2 shown]
	v_lshlrev_b32_e32 v8, 4, v185
	v_accvgpr_read_b32 v39, a11
	v_accvgpr_read_b32 v35, a7
	ds_write_b128 v8, v[28:31]
	ds_write_b128 v8, v[24:27] offset:16
	ds_write_b128 v8, v[0:3] offset:32
	;; [unrolled: 1-line block ×6, first 2 shown]
	v_mov_b32_e32 v168, v59
	v_mov_b32_e32 v170, v58
	ds_write_b128 v8, v[54:57] offset:112
	v_accvgpr_read_b32 v56, a62
	ds_write_b128 v8, v[172:175] offset:128
	v_accvgpr_read_b32 v177, a15
	ds_write_b128 v8, v[180:183] offset:144
	v_accvgpr_read_b32 v183, a19
	v_accvgpr_read_b32 v207, a51
	v_accvgpr_read_b32 v206, a50
	;; [unrolled: 1-line block ×23, first 2 shown]
	ds_write_b128 v8, v[156:159] offset:160
	ds_write_b128 v8, v[160:163] offset:176
	;; [unrolled: 1-line block ×3, first 2 shown]
.LBB0_21:
	s_or_b64 exec, exec, s[22:23]
	s_waitcnt lgkmcnt(0)
	s_barrier
	ds_read_b128 v[120:123], v184
	ds_read_b128 v[116:119], v184 offset:2496
	ds_read_b128 v[136:139], v184 offset:16224
	ds_read_b128 v[128:131], v184 offset:18720
	ds_read_b128 v[112:115], v184 offset:4992
	ds_read_b128 v[0:3], v184 offset:7488
	ds_read_b128 v[140:143], v184 offset:13728
	ds_read_b128 v[108:111], v184 offset:9984
	ds_read_b128 v[132:135], v184 offset:21216
	ds_read_b128 v[124:127], v184 offset:23712
	s_and_saveexec_b64 s[0:1], s[2:3]
	s_cbranch_execz .LBB0_23
; %bb.22:
	ds_read_b128 v[156:159], v184 offset:12480
	ds_read_b128 v[160:163], v184 offset:26208
.LBB0_23:
	s_or_b64 exec, exec, s[0:1]
	v_accvgpr_read_b32 v18, a20
	v_accvgpr_read_b32 v20, a22
	;; [unrolled: 1-line block ×4, first 2 shown]
	s_waitcnt lgkmcnt(6)
	v_mul_f64 v[16:17], v[20:21], v[130:131]
	v_mul_f64 v[12:13], v[20:21], v[128:129]
	v_accvgpr_read_b32 v24, a36
	v_mul_f64 v[8:9], v[34:35], v[138:139]
	v_mul_f64 v[10:11], v[34:35], v[136:137]
	v_fmac_f64_e32 v[16:17], v[18:19], v[128:129]
	v_fma_f64 v[18:19], v[18:19], v[130:131], -v[12:13]
	s_waitcnt lgkmcnt(1)
	v_mul_f64 v[12:13], v[182:183], v[132:133]
	v_accvgpr_read_b32 v26, a38
	v_accvgpr_read_b32 v27, a39
	v_fmac_f64_e32 v[8:9], v[32:33], v[136:137]
	v_fma_f64 v[10:11], v[32:33], v[138:139], -v[10:11]
	v_fma_f64 v[22:23], v[180:181], v[134:135], -v[12:13]
	v_accvgpr_read_b32 v25, a37
	s_waitcnt lgkmcnt(0)
	v_mul_f64 v[32:33], v[26:27], v[126:127]
	v_mul_f64 v[12:13], v[26:27], v[124:125]
	v_fmac_f64_e32 v[32:33], v[24:25], v[124:125]
	v_fma_f64 v[34:35], v[24:25], v[126:127], -v[12:13]
	v_accvgpr_read_b32 v24, a32
	v_mul_f64 v[4:5], v[38:39], v[142:143]
	v_mul_f64 v[6:7], v[38:39], v[140:141]
	v_accvgpr_read_b32 v26, a34
	v_accvgpr_read_b32 v27, a35
	v_fmac_f64_e32 v[4:5], v[36:37], v[140:141]
	v_fma_f64 v[6:7], v[36:37], v[142:143], -v[6:7]
	v_mul_f64 v[20:21], v[182:183], v[134:135]
	v_accvgpr_read_b32 v25, a33
	v_mul_f64 v[48:49], v[26:27], v[162:163]
	v_mul_f64 v[12:13], v[26:27], v[160:161]
	v_fmac_f64_e32 v[20:21], v[180:181], v[132:133]
	v_fmac_f64_e32 v[48:49], v[24:25], v[160:161]
	v_fma_f64 v[50:51], v[24:25], v[162:163], -v[12:13]
	v_add_f64 v[12:13], v[120:121], -v[4:5]
	v_add_f64 v[14:15], v[122:123], -v[6:7]
	v_fma_f64 v[24:25], v[120:121], 2.0, -v[12:13]
	v_fma_f64 v[26:27], v[122:123], 2.0, -v[14:15]
	v_add_f64 v[28:29], v[116:117], -v[8:9]
	v_add_f64 v[30:31], v[118:119], -v[10:11]
	;; [unrolled: 1-line block ×10, first 2 shown]
	v_fma_f64 v[36:37], v[116:117], 2.0, -v[28:29]
	v_fma_f64 v[38:39], v[118:119], 2.0, -v[30:31]
	v_fma_f64 v[44:45], v[112:113], 2.0, -v[40:41]
	v_fma_f64 v[46:47], v[114:115], 2.0, -v[42:43]
	v_fma_f64 v[0:1], v[0:1], 2.0, -v[4:5]
	v_fma_f64 v[2:3], v[2:3], 2.0, -v[6:7]
	v_fma_f64 v[16:17], v[108:109], 2.0, -v[8:9]
	v_fma_f64 v[18:19], v[110:111], 2.0, -v[10:11]
	v_fma_f64 v[32:33], v[156:157], 2.0, -v[20:21]
	v_fma_f64 v[34:35], v[158:159], 2.0, -v[22:23]
	s_barrier
	ds_write_b128 v173, v[24:27]
	ds_write_b128 v173, v[12:15] offset:208
	ds_write_b128 v179, v[36:39]
	ds_write_b128 v179, v[28:31] offset:208
	;; [unrolled: 2-line block ×4, first 2 shown]
	v_accvgpr_read_b32 v12, a52
	ds_write_b128 v12, v[16:19]
	ds_write_b128 v12, v[8:11] offset:208
	s_and_saveexec_b64 s[0:1], s[2:3]
	s_cbranch_execz .LBB0_25
; %bb.24:
	v_mad_legacy_u16 v12, v168, 26, v171
	v_lshlrev_b32_e32 v12, 4, v12
	ds_write_b128 v12, v[32:35]
	ds_write_b128 v12, v[20:23] offset:208
.LBB0_25:
	s_or_b64 exec, exec, s[0:1]
	s_waitcnt lgkmcnt(0)
	s_barrier
	ds_read_b128 v[36:39], v184
	ds_read_b128 v[124:127], v184 offset:4576
	ds_read_b128 v[120:123], v184 offset:9152
	;; [unrolled: 1-line block ×5, first 2 shown]
	s_and_saveexec_b64 s[0:1], s[4:5]
	s_cbranch_execz .LBB0_27
; %bb.26:
	ds_read_b128 v[0:3], v184 offset:2496
	ds_read_b128 v[4:7], v184 offset:7072
	;; [unrolled: 1-line block ×6, first 2 shown]
.LBB0_27:
	s_or_b64 exec, exec, s[0:1]
	v_accvgpr_read_b32 v44, a58
	s_waitcnt lgkmcnt(4)
	v_mul_f64 v[12:13], v[66:67], v[124:125]
	v_accvgpr_read_b32 v46, a60
	v_accvgpr_read_b32 v47, a61
	v_fma_f64 v[40:41], v[64:65], v[126:127], -v[12:13]
	s_waitcnt lgkmcnt(3)
	v_mul_f64 v[12:13], v[62:63], v[122:123]
	v_accvgpr_read_b32 v45, a59
	s_waitcnt lgkmcnt(1)
	v_mul_f64 v[28:29], v[46:47], v[114:115]
	v_accvgpr_read_b32 v48, a54
	v_fmac_f64_e32 v[12:13], v[60:61], v[120:121]
	v_mul_f64 v[14:15], v[62:63], v[120:121]
	v_fmac_f64_e32 v[28:29], v[44:45], v[112:113]
	v_mul_f64 v[42:43], v[46:47], v[112:113]
	v_accvgpr_read_b32 v50, a56
	v_accvgpr_read_b32 v51, a57
	v_fma_f64 v[14:15], v[60:61], v[122:123], -v[14:15]
	v_fma_f64 v[42:43], v[44:45], v[114:115], -v[42:43]
	v_accvgpr_read_b32 v49, a55
	s_waitcnt lgkmcnt(0)
	v_mul_f64 v[44:45], v[50:51], v[110:111]
	v_mul_f64 v[46:47], v[50:51], v[108:109]
	v_add_f64 v[50:51], v[12:13], v[28:29]
	s_mov_b32 s0, 0xe8584caa
	v_fmac_f64_e32 v[44:45], v[48:49], v[108:109]
	v_fma_f64 v[46:47], v[48:49], v[110:111], -v[46:47]
	v_add_f64 v[48:49], v[36:37], v[12:13]
	v_fmac_f64_e32 v[36:37], -0.5, v[50:51]
	v_add_f64 v[50:51], v[14:15], -v[42:43]
	s_mov_b32 s1, 0xbfebb67a
	s_mov_b32 s3, 0x3febb67a
	;; [unrolled: 1-line block ×3, first 2 shown]
	v_mul_f64 v[30:31], v[66:67], v[126:127]
	v_mul_f64 v[24:25], v[58:59], v[118:119]
	v_fma_f64 v[52:53], s[0:1], v[50:51], v[36:37]
	v_fmac_f64_e32 v[36:37], s[2:3], v[50:51]
	v_add_f64 v[50:51], v[38:39], v[14:15]
	v_add_f64 v[14:15], v[14:15], v[42:43]
	v_fmac_f64_e32 v[30:31], v[64:65], v[124:125]
	v_fmac_f64_e32 v[24:25], v[56:57], v[116:117]
	v_fmac_f64_e32 v[38:39], -0.5, v[14:15]
	v_add_f64 v[12:13], v[12:13], -v[28:29]
	v_mul_f64 v[26:27], v[58:59], v[116:117]
	v_fma_f64 v[54:55], s[2:3], v[12:13], v[38:39]
	v_fmac_f64_e32 v[38:39], s[0:1], v[12:13]
	v_add_f64 v[12:13], v[30:31], v[24:25]
	v_fma_f64 v[26:27], v[56:57], v[118:119], -v[26:27]
	v_add_f64 v[50:51], v[50:51], v[42:43]
	v_add_f64 v[42:43], v[12:13], v[44:45]
	;; [unrolled: 1-line block ×3, first 2 shown]
	v_fmac_f64_e32 v[30:31], -0.5, v[12:13]
	v_add_f64 v[12:13], v[26:27], -v[46:47]
	v_fma_f64 v[56:57], s[0:1], v[12:13], v[30:31]
	v_fmac_f64_e32 v[30:31], s[2:3], v[12:13]
	v_add_f64 v[12:13], v[40:41], v[26:27]
	v_add_f64 v[58:59], v[12:13], v[46:47]
	;; [unrolled: 1-line block ×3, first 2 shown]
	v_fmac_f64_e32 v[40:41], -0.5, v[12:13]
	v_add_f64 v[12:13], v[24:25], -v[44:45]
	v_fma_f64 v[26:27], s[2:3], v[12:13], v[40:41]
	v_fmac_f64_e32 v[40:41], s[0:1], v[12:13]
	v_mul_f64 v[44:45], v[26:27], s[0:1]
	v_mul_f64 v[60:61], v[26:27], 0.5
	v_add_f64 v[48:49], v[48:49], v[28:29]
	v_fmac_f64_e32 v[44:45], 0.5, v[56:57]
	v_mul_f64 v[46:47], v[40:41], s[0:1]
	v_fmac_f64_e32 v[60:61], s[2:3], v[56:57]
	v_mul_f64 v[56:57], v[40:41], -0.5
	v_add_f64 v[12:13], v[48:49], v[42:43]
	v_fmac_f64_e32 v[46:47], -0.5, v[30:31]
	v_add_f64 v[14:15], v[50:51], v[58:59]
	v_fmac_f64_e32 v[56:57], s[2:3], v[30:31]
	v_add_f64 v[40:41], v[48:49], -v[42:43]
	v_accvgpr_read_b32 v48, a53
	v_add_f64 v[24:25], v[52:53], v[44:45]
	v_add_f64 v[28:29], v[36:37], v[46:47]
	;; [unrolled: 1-line block ×4, first 2 shown]
	v_add_f64 v[44:45], v[52:53], -v[44:45]
	v_add_f64 v[36:37], v[36:37], -v[46:47]
	;; [unrolled: 1-line block ×5, first 2 shown]
	s_barrier
	ds_write_b128 v48, v[12:15]
	ds_write_b128 v48, v[24:27] offset:416
	ds_write_b128 v48, v[28:31] offset:832
	;; [unrolled: 1-line block ×5, first 2 shown]
	s_and_saveexec_b64 s[14:15], s[4:5]
	s_cbranch_execz .LBB0_29
; %bb.28:
	v_accvgpr_read_b32 v31, a27
	v_accvgpr_read_b32 v30, a26
	;; [unrolled: 1-line block ×4, first 2 shown]
	v_mul_f64 v[12:13], v[30:31], v[16:17]
	v_accvgpr_read_b32 v39, a31
	v_fma_f64 v[14:15], v[28:29], v[18:19], -v[12:13]
	v_accvgpr_read_b32 v38, a30
	v_mul_f64 v[18:19], v[30:31], v[18:19]
	v_accvgpr_read_b32 v37, a29
	v_accvgpr_read_b32 v36, a28
	v_fmac_f64_e32 v[18:19], v[28:29], v[16:17]
	v_mul_f64 v[16:17], v[38:39], v[34:35]
	v_mul_f64 v[12:13], v[38:39], v[32:33]
	v_fmac_f64_e32 v[16:17], v[36:37], v[32:33]
	v_accvgpr_read_b32 v42, a44
	v_mul_f64 v[32:33], v[176:177], v[10:11]
	v_accvgpr_read_b32 v38, a40
	v_accvgpr_read_b32 v44, a46
	;; [unrolled: 1-line block ×3, first 2 shown]
	v_fmac_f64_e32 v[32:33], v[174:175], v[8:9]
	v_accvgpr_read_b32 v40, a42
	v_accvgpr_read_b32 v41, a43
	v_mul_f64 v[8:9], v[176:177], v[8:9]
	v_fma_f64 v[24:25], v[36:37], v[34:35], -v[12:13]
	v_accvgpr_read_b32 v43, a45
	v_mul_f64 v[30:31], v[44:45], v[6:7]
	v_accvgpr_read_b32 v39, a41
	v_mul_f64 v[34:35], v[40:41], v[22:23]
	v_fma_f64 v[10:11], v[174:175], v[10:11], -v[8:9]
	v_mul_f64 v[8:9], v[40:41], v[20:21]
	v_fmac_f64_e32 v[30:31], v[42:43], v[4:5]
	v_fmac_f64_e32 v[34:35], v[38:39], v[20:21]
	v_fma_f64 v[20:21], v[38:39], v[22:23], -v[8:9]
	v_mul_f64 v[4:5], v[44:45], v[4:5]
	v_add_f64 v[12:13], v[14:15], v[24:25]
	v_fma_f64 v[6:7], v[42:43], v[6:7], -v[4:5]
	v_add_f64 v[4:5], v[10:11], v[20:21]
	v_fma_f64 v[26:27], -0.5, v[12:13], v[2:3]
	v_add_f64 v[36:37], v[32:33], v[34:35]
	v_fma_f64 v[38:39], -0.5, v[4:5], v[6:7]
	v_add_f64 v[40:41], v[32:33], -v[34:35]
	v_add_f64 v[2:3], v[2:3], v[14:15]
	v_fma_f64 v[36:37], -0.5, v[36:37], v[30:31]
	v_add_f64 v[8:9], v[10:11], -v[20:21]
	v_fma_f64 v[42:43], s[0:1], v[40:41], v[38:39]
	v_add_f64 v[46:47], v[2:3], v[24:25]
	v_add_f64 v[2:3], v[6:7], v[10:11]
	v_fma_f64 v[22:23], s[2:3], v[8:9], v[36:37]
	v_mul_f64 v[44:45], v[42:43], -0.5
	v_fmac_f64_e32 v[38:39], s[2:3], v[40:41]
	v_add_f64 v[48:49], v[2:3], v[20:21]
	v_add_f64 v[2:3], v[18:19], v[16:17]
	v_mul_f64 v[42:43], v[42:43], s[0:1]
	v_add_f64 v[12:13], v[18:19], -v[16:17]
	v_fmac_f64_e32 v[44:45], s[2:3], v[22:23]
	v_fmac_f64_e32 v[36:37], s[0:1], v[8:9]
	v_fma_f64 v[50:51], -0.5, v[2:3], v[0:1]
	v_add_f64 v[6:7], v[14:15], -v[24:25]
	v_fmac_f64_e32 v[42:43], -0.5, v[22:23]
	v_mul_f64 v[22:23], v[38:39], s[0:1]
	v_add_f64 v[0:1], v[0:1], v[18:19]
	v_add_f64 v[10:11], v[30:31], v[32:33]
	v_fma_f64 v[28:29], s[0:1], v[12:13], v[26:27]
	v_fma_f64 v[14:15], s[2:3], v[6:7], v[50:51]
	v_fmac_f64_e32 v[50:51], s[0:1], v[6:7]
	v_fmac_f64_e32 v[22:23], 0.5, v[36:37]
	v_add_f64 v[0:1], v[0:1], v[16:17]
	v_add_f64 v[30:31], v[10:11], v[34:35]
	s_movk_i32 s0, 0x9c
	v_mul_f64 v[40:41], v[38:39], 0.5
	v_add_f64 v[6:7], v[50:51], -v[22:23]
	v_add_f64 v[10:11], v[0:1], -v[30:31]
	v_add_f64 v[18:19], v[50:51], v[22:23]
	v_add_f64 v[22:23], v[0:1], v[30:31]
	v_mad_legacy_u16 v0, v169, s0, v172
	v_fmac_f64_e32 v[26:27], s[2:3], v[12:13]
	v_fmac_f64_e32 v[40:41], s[2:3], v[36:37]
	v_add_f64 v[24:25], v[46:47], v[48:49]
	v_lshlrev_b32_e32 v0, 4, v0
	v_add_f64 v[4:5], v[28:29], -v[44:45]
	v_add_f64 v[8:9], v[26:27], -v[40:41]
	;; [unrolled: 1-line block ×4, first 2 shown]
	v_add_f64 v[16:17], v[28:29], v[44:45]
	v_add_f64 v[20:21], v[26:27], v[40:41]
	;; [unrolled: 1-line block ×3, first 2 shown]
	ds_write_b128 v0, v[22:25]
	ds_write_b128 v0, v[18:21] offset:416
	ds_write_b128 v0, v[14:17] offset:832
	;; [unrolled: 1-line block ×5, first 2 shown]
.LBB0_29:
	s_or_b64 exec, exec, s[14:15]
	s_waitcnt lgkmcnt(0)
	s_barrier
	ds_read_b128 v[4:7], v184
	ds_read_b128 v[0:3], v184 offset:2496
	ds_read_b128 v[8:11], v184 offset:4992
	;; [unrolled: 1-line block ×10, first 2 shown]
	s_waitcnt lgkmcnt(9)
	v_mul_f64 v[46:47], v[82:83], v[2:3]
	v_fmac_f64_e32 v[46:47], v[80:81], v[0:1]
	v_mul_f64 v[0:1], v[82:83], v[0:1]
	v_fma_f64 v[48:49], v[80:81], v[2:3], -v[0:1]
	s_waitcnt lgkmcnt(8)
	v_mul_f64 v[0:1], v[78:79], v[8:9]
	v_fma_f64 v[52:53], v[76:77], v[10:11], -v[0:1]
	s_waitcnt lgkmcnt(7)
	v_mul_f64 v[0:1], v[74:75], v[12:13]
	v_fma_f64 v[56:57], v[72:73], v[14:15], -v[0:1]
	s_waitcnt lgkmcnt(6)
	v_mul_f64 v[16:17], v[70:71], v[20:21]
	v_mul_f64 v[0:1], v[70:71], v[18:19]
	v_fmac_f64_e32 v[16:17], v[68:69], v[18:19]
	v_fma_f64 v[18:19], v[68:69], v[20:21], -v[0:1]
	s_waitcnt lgkmcnt(5)
	v_mul_f64 v[0:1], v[98:99], v[22:23]
	v_mul_f64 v[50:51], v[78:79], v[10:11]
	v_fma_f64 v[10:11], v[96:97], v[24:25], -v[0:1]
	s_waitcnt lgkmcnt(4)
	v_mul_f64 v[0:1], v[94:95], v[26:27]
	v_fmac_f64_e32 v[50:51], v[76:77], v[8:9]
	v_mul_f64 v[54:55], v[74:75], v[14:15]
	v_mul_f64 v[8:9], v[98:99], v[24:25]
	v_fma_f64 v[14:15], v[92:93], v[28:29], -v[0:1]
	s_waitcnt lgkmcnt(3)
	v_mul_f64 v[0:1], v[90:91], v[30:31]
	v_fmac_f64_e32 v[54:55], v[72:73], v[12:13]
	v_fmac_f64_e32 v[8:9], v[96:97], v[22:23]
	v_mul_f64 v[12:13], v[94:95], v[28:29]
	v_fma_f64 v[22:23], v[88:89], v[32:33], -v[0:1]
	s_waitcnt lgkmcnt(2)
	v_mul_f64 v[0:1], v[86:87], v[34:35]
	v_add_f64 v[2:3], v[6:7], v[48:49]
	v_fmac_f64_e32 v[12:13], v[92:93], v[26:27]
	v_mul_f64 v[20:21], v[90:91], v[32:33]
	v_fma_f64 v[26:27], v[84:85], v[36:37], -v[0:1]
	s_waitcnt lgkmcnt(1)
	v_mul_f64 v[0:1], v[106:107], v[38:39]
	v_add_f64 v[2:3], v[2:3], v[52:53]
	;; [unrolled: 6-line block ×3, first 2 shown]
	v_fmac_f64_e32 v[24:25], v[84:85], v[34:35]
	v_fma_f64 v[34:35], v[100:101], v[44:45], -v[0:1]
	v_add_f64 v[0:1], v[4:5], v[46:47]
	v_add_f64 v[2:3], v[2:3], v[18:19]
	;; [unrolled: 1-line block ×10, first 2 shown]
	v_mul_f64 v[28:29], v[106:107], v[40:41]
	v_mul_f64 v[32:33], v[102:103], v[44:45]
	v_add_f64 v[0:1], v[0:1], v[12:13]
	v_add_f64 v[2:3], v[2:3], v[30:31]
	s_mov_b32 s20, 0xf8bb580b
	s_mov_b32 s2, 0x8eee2c13
	;; [unrolled: 1-line block ×5, first 2 shown]
	v_fmac_f64_e32 v[28:29], v[104:105], v[38:39]
	v_fmac_f64_e32 v[32:33], v[100:101], v[42:43]
	v_add_f64 v[0:1], v[0:1], v[20:21]
	v_add_f64 v[2:3], v[2:3], v[34:35]
	;; [unrolled: 1-line block ×3, first 2 shown]
	v_add_f64 v[34:35], v[48:49], -v[34:35]
	s_mov_b32 s21, 0xbfe14ced
	s_mov_b32 s22, 0x8764f0ba
	;; [unrolled: 1-line block ×10, first 2 shown]
	v_add_f64 v[0:1], v[0:1], v[24:25]
	v_add_f64 v[36:37], v[46:47], v[32:33]
	v_mul_f64 v[40:41], v[34:35], s[20:21]
	s_mov_b32 s23, 0x3feaeb8c
	v_mul_f64 v[48:49], v[34:35], s[2:3]
	s_mov_b32 s5, 0x3fda9628
	;; [unrolled: 2-line block ×5, first 2 shown]
	v_add_f64 v[0:1], v[0:1], v[28:29]
	v_fma_f64 v[42:43], s[22:23], v[36:37], v[40:41]
	v_fma_f64 v[40:41], v[36:37], s[22:23], -v[40:41]
	v_fma_f64 v[58:59], s[4:5], v[36:37], v[48:49]
	v_fma_f64 v[48:49], v[36:37], s[4:5], -v[48:49]
	v_fma_f64 v[66:67], s[18:19], v[36:37], v[64:65]
	v_fma_f64 v[64:65], v[36:37], s[18:19], -v[64:65]
	v_fma_f64 v[74:75], s[30:31], v[36:37], v[72:73]
	v_fma_f64 v[72:73], v[36:37], s[30:31], -v[72:73]
	v_fma_f64 v[80:81], s[38:39], v[36:37], v[34:35]
	v_fma_f64 v[34:35], v[36:37], s[38:39], -v[34:35]
	v_add_f64 v[0:1], v[0:1], v[32:33]
	v_add_f64 v[32:33], v[46:47], -v[32:33]
	v_add_f64 v[42:43], v[4:5], v[42:43]
	v_mul_f64 v[44:45], v[38:39], s[22:23]
	s_mov_b32 s25, 0x3fe14ced
	s_mov_b32 s24, s20
	v_add_f64 v[40:41], v[4:5], v[40:41]
	v_add_f64 v[58:59], v[4:5], v[58:59]
	v_mul_f64 v[60:61], v[38:39], s[4:5]
	s_mov_b32 s15, 0x3fed1bb4
	s_mov_b32 s14, s2
	v_add_f64 v[48:49], v[4:5], v[48:49]
	;; [unrolled: 5-line block ×5, first 2 shown]
	v_add_f64 v[34:35], v[52:53], v[30:31]
	v_add_f64 v[30:31], v[52:53], -v[30:31]
	v_fma_f64 v[46:47], s[24:25], v[32:33], v[44:45]
	v_fmac_f64_e32 v[44:45], s[20:21], v[32:33]
	v_fma_f64 v[62:63], s[14:15], v[32:33], v[60:61]
	v_fmac_f64_e32 v[60:61], s[2:3], v[32:33]
	;; [unrolled: 2-line block ×5, first 2 shown]
	v_add_f64 v[32:33], v[50:51], v[28:29]
	v_mul_f64 v[36:37], v[30:31], s[2:3]
	v_add_f64 v[46:47], v[6:7], v[46:47]
	v_add_f64 v[44:45], v[6:7], v[44:45]
	;; [unrolled: 1-line block ×10, first 2 shown]
	v_fma_f64 v[38:39], s[4:5], v[32:33], v[36:37]
	v_add_f64 v[28:29], v[50:51], -v[28:29]
	v_add_f64 v[38:39], v[38:39], v[42:43]
	v_mul_f64 v[42:43], v[34:35], s[4:5]
	v_fma_f64 v[50:51], s[14:15], v[28:29], v[42:43]
	v_fma_f64 v[36:37], v[32:33], s[4:5], -v[36:37]
	v_fmac_f64_e32 v[42:43], s[2:3], v[28:29]
	v_add_f64 v[46:47], v[50:51], v[46:47]
	v_add_f64 v[36:37], v[36:37], v[40:41]
	;; [unrolled: 1-line block ×3, first 2 shown]
	v_mul_f64 v[42:43], v[30:31], s[28:29]
	v_mul_f64 v[50:51], v[34:35], s[30:31]
	v_fma_f64 v[44:45], s[30:31], v[32:33], v[42:43]
	v_fma_f64 v[52:53], s[34:35], v[28:29], v[50:51]
	v_fma_f64 v[42:43], v[32:33], s[30:31], -v[42:43]
	v_fmac_f64_e32 v[50:51], s[28:29], v[28:29]
	v_add_f64 v[42:43], v[42:43], v[48:49]
	v_add_f64 v[48:49], v[50:51], v[60:61]
	v_mul_f64 v[50:51], v[30:31], s[40:41]
	v_add_f64 v[44:45], v[44:45], v[58:59]
	v_fma_f64 v[58:59], s[38:39], v[32:33], v[50:51]
	v_fma_f64 v[50:51], v[32:33], s[38:39], -v[50:51]
	v_add_f64 v[50:51], v[50:51], v[64:65]
	v_mul_f64 v[64:65], v[30:31], s[26:27]
	v_add_f64 v[58:59], v[58:59], v[66:67]
	v_mul_f64 v[60:61], v[34:35], s[38:39]
	v_fma_f64 v[66:67], s[18:19], v[32:33], v[64:65]
	v_fma_f64 v[64:65], v[32:33], s[18:19], -v[64:65]
	v_mul_f64 v[30:31], v[30:31], s[24:25]
	v_add_f64 v[52:53], v[52:53], v[62:63]
	v_fma_f64 v[62:63], s[36:37], v[28:29], v[60:61]
	v_fmac_f64_e32 v[60:61], s[40:41], v[28:29]
	v_add_f64 v[64:65], v[64:65], v[72:73]
	v_fma_f64 v[72:73], s[22:23], v[32:33], v[30:31]
	v_fma_f64 v[30:31], v[32:33], s[22:23], -v[30:31]
	v_add_f64 v[60:61], v[60:61], v[68:69]
	v_mul_f64 v[68:69], v[34:35], s[18:19]
	v_mul_f64 v[34:35], v[34:35], s[22:23]
	v_add_f64 v[4:5], v[30:31], v[4:5]
	v_add_f64 v[30:31], v[56:57], v[26:27]
	v_add_f64 v[26:27], v[56:57], -v[26:27]
	v_add_f64 v[62:63], v[62:63], v[70:71]
	v_add_f64 v[66:67], v[66:67], v[74:75]
	v_fma_f64 v[70:71], s[0:1], v[28:29], v[68:69]
	v_fmac_f64_e32 v[68:69], s[26:27], v[28:29]
	v_fma_f64 v[74:75], s[20:21], v[28:29], v[34:35]
	v_fmac_f64_e32 v[34:35], s[24:25], v[28:29]
	v_add_f64 v[28:29], v[54:55], v[24:25]
	v_mul_f64 v[32:33], v[26:27], s[0:1]
	v_add_f64 v[6:7], v[34:35], v[6:7]
	v_fma_f64 v[34:35], s[18:19], v[28:29], v[32:33]
	v_add_f64 v[24:25], v[54:55], -v[24:25]
	v_add_f64 v[34:35], v[34:35], v[38:39]
	v_mul_f64 v[38:39], v[30:31], s[18:19]
	v_fma_f64 v[54:55], s[26:27], v[24:25], v[38:39]
	v_fma_f64 v[32:33], v[28:29], s[18:19], -v[32:33]
	v_fmac_f64_e32 v[38:39], s[0:1], v[24:25]
	v_add_f64 v[32:33], v[32:33], v[36:37]
	v_add_f64 v[36:37], v[38:39], v[40:41]
	v_mul_f64 v[38:39], v[26:27], s[40:41]
	v_fma_f64 v[40:41], s[38:39], v[28:29], v[38:39]
	v_add_f64 v[40:41], v[40:41], v[44:45]
	v_mul_f64 v[44:45], v[30:31], s[38:39]
	v_add_f64 v[46:47], v[54:55], v[46:47]
	v_fma_f64 v[54:55], s[36:37], v[24:25], v[44:45]
	v_fma_f64 v[38:39], v[28:29], s[38:39], -v[38:39]
	v_fmac_f64_e32 v[44:45], s[40:41], v[24:25]
	v_add_f64 v[52:53], v[54:55], v[52:53]
	v_add_f64 v[38:39], v[38:39], v[42:43]
	;; [unrolled: 1-line block ×3, first 2 shown]
	v_mul_f64 v[44:45], v[26:27], s[14:15]
	v_mul_f64 v[54:55], v[30:31], s[4:5]
	v_fma_f64 v[48:49], s[4:5], v[28:29], v[44:45]
	v_fma_f64 v[56:57], s[2:3], v[24:25], v[54:55]
	v_fma_f64 v[44:45], v[28:29], s[4:5], -v[44:45]
	v_fmac_f64_e32 v[54:55], s[14:15], v[24:25]
	v_add_f64 v[44:45], v[44:45], v[50:51]
	v_add_f64 v[50:51], v[54:55], v[60:61]
	v_mul_f64 v[54:55], v[26:27], s[20:21]
	v_add_f64 v[48:49], v[48:49], v[58:59]
	v_fma_f64 v[58:59], s[22:23], v[28:29], v[54:55]
	v_fma_f64 v[54:55], v[28:29], s[22:23], -v[54:55]
	v_mul_f64 v[26:27], v[26:27], s[28:29]
	v_add_f64 v[54:55], v[54:55], v[64:65]
	v_fma_f64 v[64:65], s[30:31], v[28:29], v[26:27]
	v_fma_f64 v[26:27], v[28:29], s[30:31], -v[26:27]
	v_mul_f64 v[60:61], v[30:31], s[22:23]
	v_mul_f64 v[30:31], v[30:31], s[30:31]
	v_add_f64 v[4:5], v[26:27], v[4:5]
	v_add_f64 v[26:27], v[18:19], v[22:23]
	v_add_f64 v[18:19], v[18:19], -v[22:23]
	v_add_f64 v[56:57], v[56:57], v[62:63]
	v_add_f64 v[58:59], v[58:59], v[66:67]
	v_fma_f64 v[62:63], s[24:25], v[24:25], v[60:61]
	v_fmac_f64_e32 v[60:61], s[20:21], v[24:25]
	v_fma_f64 v[66:67], s[34:35], v[24:25], v[30:31]
	v_fmac_f64_e32 v[30:31], s[28:29], v[24:25]
	v_add_f64 v[24:25], v[16:17], v[20:21]
	v_add_f64 v[16:17], v[16:17], -v[20:21]
	v_mul_f64 v[20:21], v[18:19], s[28:29]
	v_fma_f64 v[22:23], s[30:31], v[24:25], v[20:21]
	v_mul_f64 v[28:29], v[26:27], s[30:31]
	v_fma_f64 v[20:21], v[24:25], s[30:31], -v[20:21]
	v_add_f64 v[6:7], v[30:31], v[6:7]
	v_fma_f64 v[30:31], s[34:35], v[16:17], v[28:29]
	v_add_f64 v[20:21], v[20:21], v[32:33]
	v_fmac_f64_e32 v[28:29], s[28:29], v[16:17]
	v_mul_f64 v[32:33], v[18:19], s[26:27]
	v_add_f64 v[22:23], v[22:23], v[34:35]
	v_add_f64 v[28:29], v[28:29], v[36:37]
	v_fma_f64 v[34:35], s[18:19], v[24:25], v[32:33]
	v_mul_f64 v[36:37], v[26:27], s[18:19]
	v_fma_f64 v[32:33], v[24:25], s[18:19], -v[32:33]
	v_add_f64 v[34:35], v[34:35], v[40:41]
	v_fma_f64 v[40:41], s[0:1], v[16:17], v[36:37]
	v_add_f64 v[32:33], v[32:33], v[38:39]
	v_fmac_f64_e32 v[36:37], s[26:27], v[16:17]
	v_mul_f64 v[38:39], v[18:19], s[20:21]
	v_add_f64 v[30:31], v[30:31], v[46:47]
	v_add_f64 v[36:37], v[36:37], v[42:43]
	v_fma_f64 v[42:43], s[22:23], v[24:25], v[38:39]
	v_mul_f64 v[46:47], v[26:27], s[22:23]
	v_add_f64 v[42:43], v[42:43], v[48:49]
	v_fma_f64 v[48:49], s[24:25], v[16:17], v[46:47]
	v_fma_f64 v[38:39], v[24:25], s[22:23], -v[38:39]
	v_fmac_f64_e32 v[46:47], s[20:21], v[16:17]
	v_add_f64 v[38:39], v[38:39], v[44:45]
	v_add_f64 v[44:45], v[46:47], v[50:51]
	v_mul_f64 v[46:47], v[18:19], s[36:37]
	v_add_f64 v[70:71], v[70:71], v[78:79]
	v_add_f64 v[72:73], v[72:73], v[80:81]
	v_add_f64 v[74:75], v[74:75], v[82:83]
	v_add_f64 v[40:41], v[40:41], v[52:53]
	v_fma_f64 v[50:51], s[38:39], v[24:25], v[46:47]
	v_mul_f64 v[52:53], v[26:27], s[38:39]
	v_fma_f64 v[46:47], v[24:25], s[38:39], -v[46:47]
	v_mul_f64 v[18:19], v[18:19], s[14:15]
	v_mul_f64 v[26:27], v[26:27], s[4:5]
	v_add_f64 v[68:69], v[68:69], v[76:77]
	v_add_f64 v[62:63], v[62:63], v[70:71]
	;; [unrolled: 1-line block ×6, first 2 shown]
	v_fma_f64 v[54:55], s[4:5], v[24:25], v[18:19]
	v_fma_f64 v[58:59], s[2:3], v[16:17], v[26:27]
	v_add_f64 v[70:71], v[10:11], -v[14:15]
	v_add_f64 v[60:61], v[60:61], v[68:69]
	v_add_f64 v[48:49], v[48:49], v[56:57]
	v_fma_f64 v[56:57], s[40:41], v[16:17], v[52:53]
	v_fmac_f64_e32 v[52:53], s[36:37], v[16:17]
	v_add_f64 v[54:55], v[54:55], v[64:65]
	v_add_f64 v[58:59], v[58:59], v[66:67]
	v_fma_f64 v[18:19], v[24:25], s[4:5], -v[18:19]
	v_add_f64 v[64:65], v[8:9], v[12:13]
	v_add_f64 v[66:67], v[10:11], v[14:15]
	v_add_f64 v[68:69], v[8:9], -v[12:13]
	v_mul_f64 v[8:9], v[70:71], s[36:37]
	v_add_f64 v[52:53], v[52:53], v[60:61]
	v_add_f64 v[60:61], v[18:19], v[4:5]
	v_fmac_f64_e32 v[26:27], s[14:15], v[16:17]
	v_fma_f64 v[4:5], s[38:39], v[64:65], v[8:9]
	v_fma_f64 v[8:9], v[64:65], s[38:39], -v[8:9]
	v_mul_f64 v[16:17], v[70:71], s[24:25]
	v_mul_f64 v[18:19], v[66:67], s[22:23]
	;; [unrolled: 1-line block ×4, first 2 shown]
	v_add_f64 v[8:9], v[8:9], v[20:21]
	v_fma_f64 v[12:13], s[22:23], v[64:65], v[16:17]
	v_fma_f64 v[14:15], s[20:21], v[68:69], v[18:19]
	v_fma_f64 v[16:17], v[64:65], s[22:23], -v[16:17]
	v_fma_f64 v[20:21], s[30:31], v[64:65], v[24:25]
	v_add_f64 v[56:57], v[56:57], v[62:63]
	v_add_f64 v[62:63], v[26:27], v[6:7]
	v_fma_f64 v[6:7], s[40:41], v[68:69], v[10:11]
	v_fmac_f64_e32 v[10:11], s[36:37], v[68:69]
	v_add_f64 v[12:13], v[12:13], v[34:35]
	v_add_f64 v[14:15], v[14:15], v[40:41]
	;; [unrolled: 1-line block ×3, first 2 shown]
	v_fmac_f64_e32 v[18:19], s[24:25], v[68:69]
	v_add_f64 v[20:21], v[20:21], v[42:43]
	v_mul_f64 v[26:27], v[66:67], s[30:31]
	v_fma_f64 v[24:25], v[64:65], s[30:31], -v[24:25]
	v_mul_f64 v[32:33], v[70:71], s[14:15]
	v_mul_f64 v[34:35], v[66:67], s[4:5]
	;; [unrolled: 1-line block ×4, first 2 shown]
	v_add_f64 v[4:5], v[4:5], v[22:23]
	v_add_f64 v[6:7], v[6:7], v[30:31]
	;; [unrolled: 1-line block ×4, first 2 shown]
	v_fma_f64 v[22:23], s[34:35], v[68:69], v[26:27]
	v_add_f64 v[24:25], v[24:25], v[38:39]
	v_fmac_f64_e32 v[26:27], s[28:29], v[68:69]
	v_fma_f64 v[28:29], s[4:5], v[64:65], v[32:33]
	v_fma_f64 v[30:31], s[2:3], v[68:69], v[34:35]
	v_fma_f64 v[32:33], v[64:65], s[4:5], -v[32:33]
	v_fmac_f64_e32 v[34:35], s[14:15], v[68:69]
	v_fma_f64 v[36:37], s[18:19], v[64:65], v[40:41]
	v_fma_f64 v[38:39], s[26:27], v[68:69], v[42:43]
	v_fma_f64 v[40:41], v[64:65], s[18:19], -v[40:41]
	v_fmac_f64_e32 v[42:43], s[0:1], v[68:69]
	v_add_f64 v[22:23], v[22:23], v[48:49]
	v_add_f64 v[26:27], v[26:27], v[44:45]
	;; [unrolled: 1-line block ×10, first 2 shown]
	ds_write_b128 v184, v[0:3]
	ds_write_b128 v184, v[4:7] offset:2496
	ds_write_b128 v184, v[12:15] offset:4992
	;; [unrolled: 1-line block ×10, first 2 shown]
	s_waitcnt lgkmcnt(0)
	s_barrier
	s_and_b64 exec, exec, s[6:7]
	s_cbranch_execz .LBB0_31
; %bb.30:
	v_mov_b32_e32 v185, 0
	global_load_dwordx4 v[0:3], v184, s[16:17]
	global_load_dwordx4 v[4:7], v184, s[16:17] offset:2112
	s_movk_i32 s0, 0x1000
	v_lshl_add_u64 v[36:37], s[16:17], 0, v[184:185]
	v_add_co_u32_e32 v16, vcc, s0, v36
	s_movk_i32 s2, 0x2000
	s_nop 0
	v_addc_co_u32_e32 v17, vcc, 0, v37, vcc
	global_load_dwordx4 v[8:11], v[16:17], off offset:128
	global_load_dwordx4 v[12:15], v[16:17], off offset:2240
	v_add_co_u32_e32 v44, vcc, s2, v36
	v_mad_u64_u32 v[42:43], s[2:3], s8, v170, 0
	s_nop 0
	v_addc_co_u32_e32 v45, vcc, 0, v37, vcc
	global_load_dwordx4 v[16:19], v[44:45], off offset:256
	ds_read_b128 v[32:35], v184
	ds_read_b128 v[28:31], v184 offset:2112
	ds_read_b128 v[24:27], v184 offset:4224
	;; [unrolled: 1-line block ×3, first 2 shown]
	global_load_dwordx4 v[44:47], v[44:45], off offset:2368
	s_movk_i32 s3, 0x3000
	v_mad_u64_u32 v[40:41], s[0:1], s10, v178, 0
	v_add_co_u32_e32 v68, vcc, s3, v36
	v_mov_b32_e32 v52, v41
	s_nop 0
	v_addc_co_u32_e32 v69, vcc, 0, v37, vcc
	v_mad_u64_u32 v[58:59], s[4:5], s11, v178, v[52:53]
	global_load_dwordx4 v[52:55], v[68:69], off offset:384
	s_movk_i32 s6, 0x4000
	v_mov_b32_e32 v56, v43
	v_mad_u64_u32 v[56:57], s[4:5], s9, v170, v[56:57]
	v_add_co_u32_e32 v70, vcc, s6, v36
	ds_read_b128 v[48:51], v184 offset:25344
	s_nop 0
	v_addc_co_u32_e32 v71, vcc, 0, v37, vcc
	v_mov_b32_e32 v41, v58
	v_mov_b32_e32 v43, v56
	global_load_dwordx4 v[56:59], v[68:69], off offset:2496
	global_load_dwordx4 v[60:63], v[70:71], off offset:512
	;; [unrolled: 1-line block ×3, first 2 shown]
	v_mov_b32_e32 v38, s12
	v_mov_b32_e32 v39, s13
	s_mov_b32 s0, 0x58e9ebb6
	v_lshl_add_u64 v[38:39], v[40:41], 4, v[38:39]
	s_mov_b32 s1, 0x3f431877
	v_mov_b32_e32 v72, 0x840
	v_lshl_add_u64 v[38:39], v[42:43], 4, v[38:39]
	s_mul_i32 s2, s9, 0x840
	v_mad_u64_u32 v[40:41], s[4:5], s8, v72, v[38:39]
	s_movk_i32 s7, 0x5000
	v_add_u32_e32 v41, s2, v41
	v_mad_u64_u32 v[42:43], s[4:5], s8, v72, v[40:41]
	v_add_u32_e32 v43, s2, v43
	s_movk_i32 s3, 0x6000
	s_waitcnt vmcnt(9) lgkmcnt(4)
	v_mul_f64 v[68:69], v[34:35], v[2:3]
	v_mul_f64 v[2:3], v[32:33], v[2:3]
	s_waitcnt vmcnt(8) lgkmcnt(3)
	v_mul_f64 v[70:71], v[30:31], v[6:7]
	v_mul_f64 v[6:7], v[28:29], v[6:7]
	v_fmac_f64_e32 v[68:69], v[32:33], v[0:1]
	v_fma_f64 v[2:3], v[0:1], v[34:35], -v[2:3]
	v_fmac_f64_e32 v[70:71], v[28:29], v[4:5]
	v_fma_f64 v[6:7], v[4:5], v[30:31], -v[6:7]
	v_mul_f64 v[0:1], v[68:69], s[0:1]
	v_mul_f64 v[2:3], v[2:3], s[0:1]
	;; [unrolled: 1-line block ×4, first 2 shown]
	global_store_dwordx4 v[38:39], v[0:3], off
	global_store_dwordx4 v[40:41], v[4:7], off
	s_waitcnt vmcnt(9) lgkmcnt(2)
	v_mul_f64 v[0:1], v[26:27], v[10:11]
	v_mul_f64 v[2:3], v[24:25], v[10:11]
	v_fmac_f64_e32 v[0:1], v[24:25], v[8:9]
	v_fma_f64 v[2:3], v[8:9], v[26:27], -v[2:3]
	v_add_co_u32_e32 v24, vcc, s7, v36
	v_mul_f64 v[0:1], v[0:1], s[0:1]
	v_mul_f64 v[2:3], v[2:3], s[0:1]
	v_addc_co_u32_e32 v25, vcc, 0, v37, vcc
	global_store_dwordx4 v[42:43], v[0:3], off
	global_load_dwordx4 v[0:3], v[24:25], off offset:640
	s_waitcnt vmcnt(10) lgkmcnt(1)
	v_mul_f64 v[4:5], v[22:23], v[14:15]
	v_mul_f64 v[6:7], v[20:21], v[14:15]
	v_fmac_f64_e32 v[4:5], v[20:21], v[12:13]
	v_fma_f64 v[6:7], v[12:13], v[22:23], -v[6:7]
	global_load_dwordx4 v[12:15], v[24:25], off offset:2752
	ds_read_b128 v[8:11], v184 offset:8448
	v_mad_u64_u32 v[26:27], s[4:5], s8, v72, v[42:43]
	v_mul_f64 v[4:5], v[4:5], s[0:1]
	v_mul_f64 v[6:7], v[6:7], s[0:1]
	v_add_u32_e32 v27, s2, v27
	global_store_dwordx4 v[26:27], v[4:7], off
	ds_read_b128 v[4:7], v184 offset:10560
	s_waitcnt vmcnt(11) lgkmcnt(1)
	v_mul_f64 v[20:21], v[10:11], v[18:19]
	v_fmac_f64_e32 v[20:21], v[8:9], v[16:17]
	v_mul_f64 v[8:9], v[8:9], v[18:19]
	v_fma_f64 v[8:9], v[16:17], v[10:11], -v[8:9]
	v_mul_f64 v[22:23], v[8:9], s[0:1]
	s_waitcnt vmcnt(10) lgkmcnt(0)
	v_mul_f64 v[8:9], v[6:7], v[46:47]
	v_fmac_f64_e32 v[8:9], v[4:5], v[44:45]
	v_mul_f64 v[4:5], v[4:5], v[46:47]
	v_mad_u64_u32 v[16:17], s[4:5], s8, v72, v[26:27]
	v_fma_f64 v[4:5], v[44:45], v[6:7], -v[4:5]
	v_mul_f64 v[20:21], v[20:21], s[0:1]
	v_add_u32_e32 v17, s2, v17
	v_mul_f64 v[10:11], v[4:5], s[0:1]
	ds_read_b128 v[4:7], v184 offset:12672
	global_store_dwordx4 v[16:17], v[20:23], off
	v_mul_f64 v[8:9], v[8:9], s[0:1]
	s_nop 0
	v_mad_u64_u32 v[20:21], s[4:5], s8, v72, v[16:17]
	v_add_u32_e32 v21, s2, v21
	global_store_dwordx4 v[20:21], v[8:11], off
	ds_read_b128 v[8:11], v184 offset:14784
	s_waitcnt vmcnt(11) lgkmcnt(1)
	v_mul_f64 v[16:17], v[6:7], v[54:55]
	v_fmac_f64_e32 v[16:17], v[4:5], v[52:53]
	v_mul_f64 v[4:5], v[4:5], v[54:55]
	v_fma_f64 v[4:5], v[52:53], v[6:7], -v[4:5]
	v_mul_f64 v[18:19], v[4:5], s[0:1]
	v_mad_u64_u32 v[20:21], s[4:5], s8, v72, v[20:21]
	s_waitcnt vmcnt(10) lgkmcnt(0)
	v_mul_f64 v[4:5], v[10:11], v[58:59]
	v_mul_f64 v[6:7], v[8:9], v[58:59]
	;; [unrolled: 1-line block ×3, first 2 shown]
	v_add_u32_e32 v21, s2, v21
	v_fmac_f64_e32 v[4:5], v[8:9], v[56:57]
	v_fma_f64 v[6:7], v[56:57], v[10:11], -v[6:7]
	ds_read_b128 v[8:11], v184 offset:16896
	global_store_dwordx4 v[20:21], v[16:19], off
	v_mad_u64_u32 v[20:21], s[4:5], s8, v72, v[20:21]
	v_mul_f64 v[4:5], v[4:5], s[0:1]
	v_mul_f64 v[6:7], v[6:7], s[0:1]
	v_add_u32_e32 v21, s2, v21
	global_store_dwordx4 v[20:21], v[4:7], off
	ds_read_b128 v[4:7], v184 offset:19008
	s_waitcnt vmcnt(11) lgkmcnt(1)
	v_mul_f64 v[16:17], v[10:11], v[62:63]
	v_fmac_f64_e32 v[16:17], v[8:9], v[60:61]
	v_mul_f64 v[8:9], v[8:9], v[62:63]
	v_fma_f64 v[8:9], v[60:61], v[10:11], -v[8:9]
	v_mul_f64 v[18:19], v[8:9], s[0:1]
	s_waitcnt vmcnt(10) lgkmcnt(0)
	v_mul_f64 v[8:9], v[6:7], v[66:67]
	v_mad_u64_u32 v[20:21], s[4:5], s8, v72, v[20:21]
	v_fmac_f64_e32 v[8:9], v[4:5], v[64:65]
	v_mul_f64 v[4:5], v[4:5], v[66:67]
	v_mul_f64 v[16:17], v[16:17], s[0:1]
	v_add_u32_e32 v21, s2, v21
	v_fma_f64 v[4:5], v[64:65], v[6:7], -v[4:5]
	global_store_dwordx4 v[20:21], v[16:19], off
	v_mul_f64 v[10:11], v[4:5], s[0:1]
	ds_read_b128 v[4:7], v184 offset:21120
	v_mad_u64_u32 v[20:21], s[4:5], s8, v72, v[20:21]
	v_mul_f64 v[8:9], v[8:9], s[0:1]
	v_add_u32_e32 v21, s2, v21
	global_store_dwordx4 v[20:21], v[8:11], off
	ds_read_b128 v[8:11], v184 offset:23232
	s_waitcnt vmcnt(8) lgkmcnt(1)
	v_mul_f64 v[16:17], v[6:7], v[2:3]
	v_mul_f64 v[2:3], v[4:5], v[2:3]
	v_fmac_f64_e32 v[16:17], v[4:5], v[0:1]
	v_fma_f64 v[0:1], v[0:1], v[6:7], -v[2:3]
	v_mad_u64_u32 v[4:5], s[4:5], s8, v72, v[20:21]
	v_mul_f64 v[18:19], v[0:1], s[0:1]
	v_add_u32_e32 v5, s2, v5
	s_waitcnt vmcnt(7) lgkmcnt(0)
	v_mul_f64 v[0:1], v[10:11], v[14:15]
	v_mul_f64 v[2:3], v[8:9], v[14:15]
	v_fmac_f64_e32 v[0:1], v[8:9], v[12:13]
	v_fma_f64 v[2:3], v[12:13], v[10:11], -v[2:3]
	v_mad_u64_u32 v[8:9], s[4:5], s8, v72, v[4:5]
	v_mul_f64 v[16:17], v[16:17], s[0:1]
	v_mul_f64 v[0:1], v[0:1], s[0:1]
	;; [unrolled: 1-line block ×3, first 2 shown]
	v_add_u32_e32 v9, s2, v9
	global_store_dwordx4 v[4:5], v[16:19], off
	global_store_dwordx4 v[8:9], v[0:3], off
	s_nop 1
	v_add_co_u32_e32 v0, vcc, s3, v36
	s_nop 1
	v_addc_co_u32_e32 v1, vcc, 0, v37, vcc
	global_load_dwordx4 v[0:3], v[0:1], off offset:768
	s_waitcnt vmcnt(0)
	v_mul_f64 v[4:5], v[50:51], v[2:3]
	v_mul_f64 v[2:3], v[48:49], v[2:3]
	v_fmac_f64_e32 v[4:5], v[48:49], v[0:1]
	v_fma_f64 v[0:1], v[0:1], v[50:51], -v[2:3]
	v_mul_f64 v[4:5], v[4:5], s[0:1]
	v_mul_f64 v[6:7], v[0:1], s[0:1]
	v_mad_u64_u32 v[0:1], s[0:1], s8, v72, v[8:9]
	v_add_u32_e32 v1, s2, v1
	global_store_dwordx4 v[0:1], v[4:7], off
.LBB0_31:
	s_endpgm
	.section	.rodata,"a",@progbits
	.p2align	6, 0x0
	.amdhsa_kernel bluestein_single_fwd_len1716_dim1_dp_op_CI_CI
		.amdhsa_group_segment_fixed_size 27456
		.amdhsa_private_segment_fixed_size 0
		.amdhsa_kernarg_size 104
		.amdhsa_user_sgpr_count 2
		.amdhsa_user_sgpr_dispatch_ptr 0
		.amdhsa_user_sgpr_queue_ptr 0
		.amdhsa_user_sgpr_kernarg_segment_ptr 1
		.amdhsa_user_sgpr_dispatch_id 0
		.amdhsa_user_sgpr_kernarg_preload_length 0
		.amdhsa_user_sgpr_kernarg_preload_offset 0
		.amdhsa_user_sgpr_private_segment_size 0
		.amdhsa_uses_dynamic_stack 0
		.amdhsa_enable_private_segment 0
		.amdhsa_system_sgpr_workgroup_id_x 1
		.amdhsa_system_sgpr_workgroup_id_y 0
		.amdhsa_system_sgpr_workgroup_id_z 0
		.amdhsa_system_sgpr_workgroup_info 0
		.amdhsa_system_vgpr_workitem_id 0
		.amdhsa_next_free_vgpr 364
		.amdhsa_next_free_sgpr 50
		.amdhsa_accum_offset 256
		.amdhsa_reserve_vcc 1
		.amdhsa_float_round_mode_32 0
		.amdhsa_float_round_mode_16_64 0
		.amdhsa_float_denorm_mode_32 3
		.amdhsa_float_denorm_mode_16_64 3
		.amdhsa_dx10_clamp 1
		.amdhsa_ieee_mode 1
		.amdhsa_fp16_overflow 0
		.amdhsa_tg_split 0
		.amdhsa_exception_fp_ieee_invalid_op 0
		.amdhsa_exception_fp_denorm_src 0
		.amdhsa_exception_fp_ieee_div_zero 0
		.amdhsa_exception_fp_ieee_overflow 0
		.amdhsa_exception_fp_ieee_underflow 0
		.amdhsa_exception_fp_ieee_inexact 0
		.amdhsa_exception_int_div_zero 0
	.end_amdhsa_kernel
	.text
.Lfunc_end0:
	.size	bluestein_single_fwd_len1716_dim1_dp_op_CI_CI, .Lfunc_end0-bluestein_single_fwd_len1716_dim1_dp_op_CI_CI
                                        ; -- End function
	.section	.AMDGPU.csdata,"",@progbits
; Kernel info:
; codeLenInByte = 23436
; NumSgprs: 56
; NumVgprs: 256
; NumAgprs: 108
; TotalNumVgprs: 364
; ScratchSize: 0
; MemoryBound: 0
; FloatMode: 240
; IeeeMode: 1
; LDSByteSize: 27456 bytes/workgroup (compile time only)
; SGPRBlocks: 6
; VGPRBlocks: 45
; NumSGPRsForWavesPerEU: 56
; NumVGPRsForWavesPerEU: 364
; AccumOffset: 256
; Occupancy: 1
; WaveLimiterHint : 1
; COMPUTE_PGM_RSRC2:SCRATCH_EN: 0
; COMPUTE_PGM_RSRC2:USER_SGPR: 2
; COMPUTE_PGM_RSRC2:TRAP_HANDLER: 0
; COMPUTE_PGM_RSRC2:TGID_X_EN: 1
; COMPUTE_PGM_RSRC2:TGID_Y_EN: 0
; COMPUTE_PGM_RSRC2:TGID_Z_EN: 0
; COMPUTE_PGM_RSRC2:TIDIG_COMP_CNT: 0
; COMPUTE_PGM_RSRC3_GFX90A:ACCUM_OFFSET: 63
; COMPUTE_PGM_RSRC3_GFX90A:TG_SPLIT: 0
	.text
	.p2alignl 6, 3212836864
	.fill 256, 4, 3212836864
	.type	__hip_cuid_6016b1942203f737,@object ; @__hip_cuid_6016b1942203f737
	.section	.bss,"aw",@nobits
	.globl	__hip_cuid_6016b1942203f737
__hip_cuid_6016b1942203f737:
	.byte	0                               ; 0x0
	.size	__hip_cuid_6016b1942203f737, 1

	.ident	"AMD clang version 19.0.0git (https://github.com/RadeonOpenCompute/llvm-project roc-6.4.0 25133 c7fe45cf4b819c5991fe208aaa96edf142730f1d)"
	.section	".note.GNU-stack","",@progbits
	.addrsig
	.addrsig_sym __hip_cuid_6016b1942203f737
	.amdgpu_metadata
---
amdhsa.kernels:
  - .agpr_count:     108
    .args:
      - .actual_access:  read_only
        .address_space:  global
        .offset:         0
        .size:           8
        .value_kind:     global_buffer
      - .actual_access:  read_only
        .address_space:  global
        .offset:         8
        .size:           8
        .value_kind:     global_buffer
      - .actual_access:  read_only
        .address_space:  global
        .offset:         16
        .size:           8
        .value_kind:     global_buffer
      - .actual_access:  read_only
        .address_space:  global
        .offset:         24
        .size:           8
        .value_kind:     global_buffer
      - .actual_access:  read_only
        .address_space:  global
        .offset:         32
        .size:           8
        .value_kind:     global_buffer
      - .offset:         40
        .size:           8
        .value_kind:     by_value
      - .address_space:  global
        .offset:         48
        .size:           8
        .value_kind:     global_buffer
      - .address_space:  global
        .offset:         56
        .size:           8
        .value_kind:     global_buffer
      - .address_space:  global
        .offset:         64
        .size:           8
        .value_kind:     global_buffer
      - .address_space:  global
        .offset:         72
        .size:           8
        .value_kind:     global_buffer
      - .offset:         80
        .size:           4
        .value_kind:     by_value
      - .address_space:  global
        .offset:         88
        .size:           8
        .value_kind:     global_buffer
      - .address_space:  global
        .offset:         96
        .size:           8
        .value_kind:     global_buffer
    .group_segment_fixed_size: 27456
    .kernarg_segment_align: 8
    .kernarg_segment_size: 104
    .language:       OpenCL C
    .language_version:
      - 2
      - 0
    .max_flat_workgroup_size: 156
    .name:           bluestein_single_fwd_len1716_dim1_dp_op_CI_CI
    .private_segment_fixed_size: 0
    .sgpr_count:     56
    .sgpr_spill_count: 0
    .symbol:         bluestein_single_fwd_len1716_dim1_dp_op_CI_CI.kd
    .uniform_work_group_size: 1
    .uses_dynamic_stack: false
    .vgpr_count:     364
    .vgpr_spill_count: 0
    .wavefront_size: 64
amdhsa.target:   amdgcn-amd-amdhsa--gfx950
amdhsa.version:
  - 1
  - 2
...

	.end_amdgpu_metadata
